;; amdgpu-corpus repo=ROCm/rocFFT kind=compiled arch=gfx1030 opt=O3
	.text
	.amdgcn_target "amdgcn-amd-amdhsa--gfx1030"
	.amdhsa_code_object_version 6
	.protected	fft_rtc_fwd_len1960_factors_4_7_2_7_5_wgs_56_tpt_56_halfLds_half_ip_CI_unitstride_sbrr_C2R_dirReg ; -- Begin function fft_rtc_fwd_len1960_factors_4_7_2_7_5_wgs_56_tpt_56_halfLds_half_ip_CI_unitstride_sbrr_C2R_dirReg
	.globl	fft_rtc_fwd_len1960_factors_4_7_2_7_5_wgs_56_tpt_56_halfLds_half_ip_CI_unitstride_sbrr_C2R_dirReg
	.p2align	8
	.type	fft_rtc_fwd_len1960_factors_4_7_2_7_5_wgs_56_tpt_56_halfLds_half_ip_CI_unitstride_sbrr_C2R_dirReg,@function
fft_rtc_fwd_len1960_factors_4_7_2_7_5_wgs_56_tpt_56_halfLds_half_ip_CI_unitstride_sbrr_C2R_dirReg: ; @fft_rtc_fwd_len1960_factors_4_7_2_7_5_wgs_56_tpt_56_halfLds_half_ip_CI_unitstride_sbrr_C2R_dirReg
; %bb.0:
	s_clause 0x2
	s_load_dwordx4 s[8:11], s[4:5], 0x0
	s_load_dwordx2 s[2:3], s[4:5], 0x50
	s_load_dwordx2 s[12:13], s[4:5], 0x18
	v_mul_u32_u24_e32 v1, 0x493, v0
	v_mov_b32_e32 v3, 0
	v_add_nc_u32_sdwa v5, s6, v1 dst_sel:DWORD dst_unused:UNUSED_PAD src0_sel:DWORD src1_sel:WORD_1
	v_mov_b32_e32 v1, 0
	v_mov_b32_e32 v6, v3
	v_mov_b32_e32 v2, 0
	s_waitcnt lgkmcnt(0)
	v_cmp_lt_u64_e64 s0, s[10:11], 2
	s_and_b32 vcc_lo, exec_lo, s0
	s_cbranch_vccnz .LBB0_8
; %bb.1:
	s_load_dwordx2 s[0:1], s[4:5], 0x10
	v_mov_b32_e32 v1, 0
	s_add_u32 s6, s12, 8
	v_mov_b32_e32 v2, 0
	s_addc_u32 s7, s13, 0
	s_mov_b64 s[16:17], 1
	s_waitcnt lgkmcnt(0)
	s_add_u32 s14, s0, 8
	s_addc_u32 s15, s1, 0
.LBB0_2:                                ; =>This Inner Loop Header: Depth=1
	s_load_dwordx2 s[18:19], s[14:15], 0x0
                                        ; implicit-def: $vgpr7_vgpr8
	s_mov_b32 s0, exec_lo
	s_waitcnt lgkmcnt(0)
	v_or_b32_e32 v4, s19, v6
	v_cmpx_ne_u64_e32 0, v[3:4]
	s_xor_b32 s1, exec_lo, s0
	s_cbranch_execz .LBB0_4
; %bb.3:                                ;   in Loop: Header=BB0_2 Depth=1
	v_cvt_f32_u32_e32 v4, s18
	v_cvt_f32_u32_e32 v7, s19
	s_sub_u32 s0, 0, s18
	s_subb_u32 s20, 0, s19
	v_fmac_f32_e32 v4, 0x4f800000, v7
	v_rcp_f32_e32 v4, v4
	v_mul_f32_e32 v4, 0x5f7ffffc, v4
	v_mul_f32_e32 v7, 0x2f800000, v4
	v_trunc_f32_e32 v7, v7
	v_fmac_f32_e32 v4, 0xcf800000, v7
	v_cvt_u32_f32_e32 v7, v7
	v_cvt_u32_f32_e32 v4, v4
	v_mul_lo_u32 v8, s0, v7
	v_mul_hi_u32 v9, s0, v4
	v_mul_lo_u32 v10, s20, v4
	v_add_nc_u32_e32 v8, v9, v8
	v_mul_lo_u32 v9, s0, v4
	v_add_nc_u32_e32 v8, v8, v10
	v_mul_hi_u32 v10, v4, v9
	v_mul_lo_u32 v11, v4, v8
	v_mul_hi_u32 v12, v4, v8
	v_mul_hi_u32 v13, v7, v9
	v_mul_lo_u32 v9, v7, v9
	v_mul_hi_u32 v14, v7, v8
	v_mul_lo_u32 v8, v7, v8
	v_add_co_u32 v10, vcc_lo, v10, v11
	v_add_co_ci_u32_e32 v11, vcc_lo, 0, v12, vcc_lo
	v_add_co_u32 v9, vcc_lo, v10, v9
	v_add_co_ci_u32_e32 v9, vcc_lo, v11, v13, vcc_lo
	v_add_co_ci_u32_e32 v10, vcc_lo, 0, v14, vcc_lo
	v_add_co_u32 v8, vcc_lo, v9, v8
	v_add_co_ci_u32_e32 v9, vcc_lo, 0, v10, vcc_lo
	v_add_co_u32 v4, vcc_lo, v4, v8
	v_add_co_ci_u32_e32 v7, vcc_lo, v7, v9, vcc_lo
	v_mul_hi_u32 v8, s0, v4
	v_mul_lo_u32 v10, s20, v4
	v_mul_lo_u32 v9, s0, v7
	v_add_nc_u32_e32 v8, v8, v9
	v_mul_lo_u32 v9, s0, v4
	v_add_nc_u32_e32 v8, v8, v10
	v_mul_hi_u32 v10, v4, v9
	v_mul_lo_u32 v11, v4, v8
	v_mul_hi_u32 v12, v4, v8
	v_mul_hi_u32 v13, v7, v9
	v_mul_lo_u32 v9, v7, v9
	v_mul_hi_u32 v14, v7, v8
	v_mul_lo_u32 v8, v7, v8
	v_add_co_u32 v10, vcc_lo, v10, v11
	v_add_co_ci_u32_e32 v11, vcc_lo, 0, v12, vcc_lo
	v_add_co_u32 v9, vcc_lo, v10, v9
	v_add_co_ci_u32_e32 v9, vcc_lo, v11, v13, vcc_lo
	v_add_co_ci_u32_e32 v10, vcc_lo, 0, v14, vcc_lo
	v_add_co_u32 v8, vcc_lo, v9, v8
	v_add_co_ci_u32_e32 v9, vcc_lo, 0, v10, vcc_lo
	v_add_co_u32 v4, vcc_lo, v4, v8
	v_add_co_ci_u32_e32 v11, vcc_lo, v7, v9, vcc_lo
	v_mul_hi_u32 v13, v5, v4
	v_mad_u64_u32 v[9:10], null, v6, v4, 0
	v_mad_u64_u32 v[7:8], null, v5, v11, 0
	;; [unrolled: 1-line block ×3, first 2 shown]
	v_add_co_u32 v4, vcc_lo, v13, v7
	v_add_co_ci_u32_e32 v7, vcc_lo, 0, v8, vcc_lo
	v_add_co_u32 v4, vcc_lo, v4, v9
	v_add_co_ci_u32_e32 v4, vcc_lo, v7, v10, vcc_lo
	v_add_co_ci_u32_e32 v7, vcc_lo, 0, v12, vcc_lo
	v_add_co_u32 v4, vcc_lo, v4, v11
	v_add_co_ci_u32_e32 v9, vcc_lo, 0, v7, vcc_lo
	v_mul_lo_u32 v10, s19, v4
	v_mad_u64_u32 v[7:8], null, s18, v4, 0
	v_mul_lo_u32 v11, s18, v9
	v_sub_co_u32 v7, vcc_lo, v5, v7
	v_add3_u32 v8, v8, v11, v10
	v_sub_nc_u32_e32 v10, v6, v8
	v_subrev_co_ci_u32_e64 v10, s0, s19, v10, vcc_lo
	v_add_co_u32 v11, s0, v4, 2
	v_add_co_ci_u32_e64 v12, s0, 0, v9, s0
	v_sub_co_u32 v13, s0, v7, s18
	v_sub_co_ci_u32_e32 v8, vcc_lo, v6, v8, vcc_lo
	v_subrev_co_ci_u32_e64 v10, s0, 0, v10, s0
	v_cmp_le_u32_e32 vcc_lo, s18, v13
	v_cmp_eq_u32_e64 s0, s19, v8
	v_cndmask_b32_e64 v13, 0, -1, vcc_lo
	v_cmp_le_u32_e32 vcc_lo, s19, v10
	v_cndmask_b32_e64 v14, 0, -1, vcc_lo
	v_cmp_le_u32_e32 vcc_lo, s18, v7
	;; [unrolled: 2-line block ×3, first 2 shown]
	v_cndmask_b32_e64 v15, 0, -1, vcc_lo
	v_cmp_eq_u32_e32 vcc_lo, s19, v10
	v_cndmask_b32_e64 v7, v15, v7, s0
	v_cndmask_b32_e32 v10, v14, v13, vcc_lo
	v_add_co_u32 v13, vcc_lo, v4, 1
	v_add_co_ci_u32_e32 v14, vcc_lo, 0, v9, vcc_lo
	v_cmp_ne_u32_e32 vcc_lo, 0, v10
	v_cndmask_b32_e32 v8, v14, v12, vcc_lo
	v_cndmask_b32_e32 v10, v13, v11, vcc_lo
	v_cmp_ne_u32_e32 vcc_lo, 0, v7
	v_cndmask_b32_e32 v8, v9, v8, vcc_lo
	v_cndmask_b32_e32 v7, v4, v10, vcc_lo
.LBB0_4:                                ;   in Loop: Header=BB0_2 Depth=1
	s_andn2_saveexec_b32 s0, s1
	s_cbranch_execz .LBB0_6
; %bb.5:                                ;   in Loop: Header=BB0_2 Depth=1
	v_cvt_f32_u32_e32 v4, s18
	s_sub_i32 s1, 0, s18
	v_rcp_iflag_f32_e32 v4, v4
	v_mul_f32_e32 v4, 0x4f7ffffe, v4
	v_cvt_u32_f32_e32 v4, v4
	v_mul_lo_u32 v7, s1, v4
	v_mul_hi_u32 v7, v4, v7
	v_add_nc_u32_e32 v4, v4, v7
	v_mul_hi_u32 v4, v5, v4
	v_mul_lo_u32 v7, v4, s18
	v_add_nc_u32_e32 v8, 1, v4
	v_sub_nc_u32_e32 v7, v5, v7
	v_subrev_nc_u32_e32 v9, s18, v7
	v_cmp_le_u32_e32 vcc_lo, s18, v7
	v_cndmask_b32_e32 v7, v7, v9, vcc_lo
	v_cndmask_b32_e32 v4, v4, v8, vcc_lo
	v_cmp_le_u32_e32 vcc_lo, s18, v7
	v_add_nc_u32_e32 v8, 1, v4
	v_cndmask_b32_e32 v7, v4, v8, vcc_lo
	v_mov_b32_e32 v8, v3
.LBB0_6:                                ;   in Loop: Header=BB0_2 Depth=1
	s_or_b32 exec_lo, exec_lo, s0
	s_load_dwordx2 s[0:1], s[6:7], 0x0
	v_mul_lo_u32 v4, v8, s18
	v_mul_lo_u32 v11, v7, s19
	v_mad_u64_u32 v[9:10], null, v7, s18, 0
	s_add_u32 s16, s16, 1
	s_addc_u32 s17, s17, 0
	s_add_u32 s6, s6, 8
	s_addc_u32 s7, s7, 0
	;; [unrolled: 2-line block ×3, first 2 shown]
	v_add3_u32 v4, v10, v11, v4
	v_sub_co_u32 v5, vcc_lo, v5, v9
	v_sub_co_ci_u32_e32 v4, vcc_lo, v6, v4, vcc_lo
	s_waitcnt lgkmcnt(0)
	v_mul_lo_u32 v6, s1, v5
	v_mul_lo_u32 v4, s0, v4
	v_mad_u64_u32 v[1:2], null, s0, v5, v[1:2]
	v_cmp_ge_u64_e64 s0, s[16:17], s[10:11]
	s_and_b32 vcc_lo, exec_lo, s0
	v_add3_u32 v2, v6, v2, v4
	s_cbranch_vccnz .LBB0_9
; %bb.7:                                ;   in Loop: Header=BB0_2 Depth=1
	v_mov_b32_e32 v5, v7
	v_mov_b32_e32 v6, v8
	s_branch .LBB0_2
.LBB0_8:
	v_mov_b32_e32 v8, v6
	v_mov_b32_e32 v7, v5
.LBB0_9:
	s_lshl_b64 s[0:1], s[10:11], 3
	v_mul_hi_u32 v5, 0x4924925, v0
	s_add_u32 s0, s12, s0
	s_addc_u32 s1, s13, s1
	s_load_dwordx2 s[0:1], s[0:1], 0x0
	s_load_dwordx2 s[4:5], s[4:5], 0x20
	s_waitcnt lgkmcnt(0)
	v_mul_lo_u32 v3, s0, v8
	v_mul_lo_u32 v4, s1, v7
	v_mad_u64_u32 v[1:2], null, s0, v7, v[1:2]
	v_cmp_gt_u64_e32 vcc_lo, s[4:5], v[7:8]
	v_add3_u32 v2, v4, v2, v3
	v_mul_u32_u24_e32 v3, 56, v5
	v_lshlrev_b64 v[18:19], 2, v[1:2]
	v_sub_nc_u32_e32 v16, v0, v3
	s_and_saveexec_b32 s1, vcc_lo
	s_cbranch_execz .LBB0_13
; %bb.10:
	v_mov_b32_e32 v17, 0
	v_add_co_u32 v0, s0, s2, v18
	v_add_co_ci_u32_e64 v1, s0, s3, v19, s0
	v_lshlrev_b64 v[2:3], 2, v[16:17]
	v_or_b32_e32 v6, 0x380, v16
	v_mov_b32_e32 v7, v17
	v_or_b32_e32 v10, 0x540, v16
	v_mov_b32_e32 v11, v17
	v_add_co_u32 v2, s0, v0, v2
	v_add_co_ci_u32_e64 v3, s0, v1, v3, s0
	v_lshlrev_b64 v[6:7], 2, v[6:7]
	v_add_co_u32 v4, s0, 0x800, v2
	v_add_co_ci_u32_e64 v5, s0, 0, v3, s0
	v_add_co_u32 v8, s0, 0x1000, v2
	v_add_co_ci_u32_e64 v9, s0, 0, v3, s0
	;; [unrolled: 2-line block ×3, first 2 shown]
	s_clause 0x17
	global_load_dword v12, v[2:3], off
	global_load_dword v13, v[2:3], off offset:224
	global_load_dword v14, v[2:3], off offset:448
	;; [unrolled: 1-line block ×21, first 2 shown]
	global_load_dword v38, v[6:7], off
	global_load_dword v39, v[4:5], off offset:1984
	v_or_b32_e32 v6, 0x700, v16
	v_mov_b32_e32 v7, v17
	v_lshlrev_b64 v[4:5], 2, v[10:11]
	v_add_co_u32 v2, s0, 0x1800, v2
	v_add_co_ci_u32_e64 v3, s0, 0, v3, s0
	v_lshlrev_b64 v[6:7], 2, v[6:7]
	v_add_co_u32 v4, s0, v0, v4
	v_add_co_ci_u32_e64 v5, s0, v1, v5, s0
	s_clause 0x1
	global_load_dword v10, v[8:9], off offset:1504
	global_load_dword v11, v[8:9], off offset:1728
	v_add_co_u32 v6, s0, v0, v6
	v_add_co_ci_u32_e64 v7, s0, v1, v7, s0
	s_clause 0x8
	global_load_dword v40, v[2:3], off offset:128
	global_load_dword v41, v[2:3], off offset:352
	;; [unrolled: 1-line block ×4, first 2 shown]
	global_load_dword v4, v[4:5], off
	global_load_dword v5, v[8:9], off offset:1952
	global_load_dword v8, v[2:3], off offset:1248
	global_load_dword v6, v[6:7], off
	global_load_dword v2, v[2:3], off offset:1472
	v_lshl_add_u32 v3, v16, 2, 0
	v_cmp_eq_u32_e64 s0, 55, v16
	v_add_nc_u32_e32 v7, 0x200, v3
	v_add_nc_u32_e32 v9, 0x400, v3
	;; [unrolled: 1-line block ×10, first 2 shown]
	s_waitcnt vmcnt(33)
	ds_write2_b32 v3, v12, v13 offset1:56
	s_waitcnt vmcnt(31)
	ds_write2_b32 v3, v14, v15 offset0:112 offset1:168
	s_waitcnt vmcnt(29)
	ds_write2_b32 v7, v20, v21 offset0:96 offset1:152
	;; [unrolled: 2-line block ×9, first 2 shown]
	ds_write2_b32 v47, v34, v35 offset0:96 offset1:152
	ds_write2_b32 v48, v36, v37 offset0:80 offset1:136
	s_waitcnt vmcnt(4)
	ds_write2_b32 v49, v4, v10 offset0:64 offset1:120
	s_waitcnt vmcnt(3)
	ds_write2_b32 v49, v11, v5 offset0:176 offset1:232
	ds_write2_b32 v50, v40, v41 offset0:32 offset1:88
	;; [unrolled: 1-line block ×3, first 2 shown]
	s_waitcnt vmcnt(1)
	ds_write2_b32 v51, v6, v8 offset1:56
	s_waitcnt vmcnt(0)
	ds_write_b32 v3, v2 offset:7616
	s_and_saveexec_b32 s4, s0
	s_cbranch_execz .LBB0_12
; %bb.11:
	v_add_co_u32 v0, s0, 0x1800, v0
	v_add_co_ci_u32_e64 v1, s0, 0, v1, s0
	v_mov_b32_e32 v16, 55
	global_load_dword v0, v[0:1], off offset:1696
	s_waitcnt vmcnt(0)
	ds_write_b32 v17, v0 offset:7840
.LBB0_12:
	s_or_b32 exec_lo, exec_lo, s4
.LBB0_13:
	s_or_b32 exec_lo, exec_lo, s1
	v_lshlrev_b32_e32 v20, 2, v16
	s_waitcnt lgkmcnt(0)
	s_barrier
	buffer_gl0_inv
	s_add_u32 s1, s8, 0x1e90
	v_add_nc_u32_e32 v51, 0, v20
	v_sub_nc_u32_e32 v2, 0, v20
	s_addc_u32 s4, s9, 0
	s_mov_b32 s5, exec_lo
                                        ; implicit-def: $vgpr0_vgpr1
	ds_read_u16 v5, v51
	ds_read_u16 v6, v2 offset:7840
	s_waitcnt lgkmcnt(0)
	v_add_f16_e32 v4, v6, v5
	v_sub_f16_e32 v3, v5, v6
	v_cmpx_ne_u32_e32 0, v16
	s_xor_b32 s5, exec_lo, s5
	s_cbranch_execz .LBB0_15
; %bb.14:
	v_mov_b32_e32 v17, 0
	v_add_f16_e32 v4, v6, v5
	v_sub_f16_e32 v5, v5, v6
	v_lshlrev_b64 v[0:1], 2, v[16:17]
	v_add_co_u32 v0, s0, s1, v0
	v_add_co_ci_u32_e64 v1, s0, s4, v1, s0
	global_load_dword v0, v[0:1], off
	ds_read_u16 v1, v2 offset:7842
	ds_read_u16 v3, v51 offset:2
	s_waitcnt lgkmcnt(0)
	v_add_f16_e32 v6, v1, v3
	v_sub_f16_e32 v1, v3, v1
	s_waitcnt vmcnt(0)
	v_lshrrev_b32_e32 v7, 16, v0
	v_fma_f16 v8, -v5, v7, v4
	v_fma_f16 v9, v6, v7, -v1
	v_fma_f16 v3, v6, v7, v1
	v_fma_f16 v4, v5, v7, v4
	v_fmac_f16_e32 v8, v0, v6
	v_fmac_f16_e32 v9, v5, v0
	;; [unrolled: 1-line block ×3, first 2 shown]
	v_fma_f16 v4, -v0, v6, v4
	v_mov_b32_e32 v0, v16
	v_mov_b32_e32 v1, v17
	v_pack_b32_f16 v5, v8, v9
	ds_write_b32 v2, v5 offset:7840
.LBB0_15:
	s_andn2_saveexec_b32 s0, s5
	s_cbranch_execz .LBB0_17
; %bb.16:
	v_mov_b32_e32 v5, 0
	ds_read_b32 v0, v5 offset:3920
	s_waitcnt lgkmcnt(0)
	v_pk_mul_f16 v6, 0xc0004000, v0
	v_mov_b32_e32 v0, 0
	v_mov_b32_e32 v1, 0
	ds_write_b32 v5, v6 offset:3920
.LBB0_17:
	s_or_b32 exec_lo, exec_lo, s0
	v_lshlrev_b64 v[0:1], 2, v[0:1]
	v_perm_b32 v3, v3, v4, 0x5040100
	v_add_co_u32 v0, s0, s1, v0
	v_add_co_ci_u32_e64 v1, s0, s4, v1, s0
	s_clause 0x6
	global_load_dword v5, v[0:1], off offset:224
	global_load_dword v6, v[0:1], off offset:448
	;; [unrolled: 1-line block ×7, first 2 shown]
	ds_write_b32 v51, v3
	ds_read_b32 v3, v51 offset:224
	ds_read_b32 v4, v2 offset:7616
	global_load_dword v12, v[0:1], off offset:1792
	s_waitcnt lgkmcnt(0)
	v_add_f16_e32 v13, v3, v4
	v_add_f16_sdwa v14, v4, v3 dst_sel:DWORD dst_unused:UNUSED_PAD src0_sel:WORD_1 src1_sel:WORD_1
	v_sub_f16_e32 v15, v3, v4
	v_sub_f16_sdwa v3, v3, v4 dst_sel:DWORD dst_unused:UNUSED_PAD src0_sel:WORD_1 src1_sel:WORD_1
	s_waitcnt vmcnt(7)
	v_lshrrev_b32_e32 v17, 16, v5
	v_fma_f16 v4, v15, v17, v13
	v_fma_f16 v21, v14, v17, v3
	v_fma_f16 v13, -v15, v17, v13
	v_fma_f16 v3, v14, v17, -v3
	v_fma_f16 v4, -v5, v14, v4
	v_fmac_f16_e32 v21, v15, v5
	v_fmac_f16_e32 v13, v5, v14
	;; [unrolled: 1-line block ×3, first 2 shown]
	s_waitcnt vmcnt(6)
	v_lshrrev_b32_e32 v5, 16, v6
	v_pack_b32_f16 v4, v4, v21
	v_pack_b32_f16 v3, v13, v3
	ds_write_b32 v51, v4 offset:224
	ds_write_b32 v2, v3 offset:7616
	ds_read_b32 v3, v51 offset:448
	ds_read_b32 v4, v2 offset:7392
	global_load_dword v17, v[0:1], off offset:2016
	v_add_co_u32 v0, s0, 0x800, v0
	v_add_co_ci_u32_e64 v1, s0, 0, v1, s0
	s_waitcnt lgkmcnt(0)
	v_add_f16_e32 v13, v3, v4
	v_add_f16_sdwa v14, v4, v3 dst_sel:DWORD dst_unused:UNUSED_PAD src0_sel:WORD_1 src1_sel:WORD_1
	v_sub_f16_e32 v15, v3, v4
	v_sub_f16_sdwa v3, v3, v4 dst_sel:DWORD dst_unused:UNUSED_PAD src0_sel:WORD_1 src1_sel:WORD_1
	v_fma_f16 v4, v15, v5, v13
	v_fma_f16 v21, v14, v5, v3
	v_fma_f16 v13, -v15, v5, v13
	v_fma_f16 v3, v14, v5, -v3
	s_waitcnt vmcnt(6)
	v_lshrrev_b32_e32 v5, 16, v7
	v_fma_f16 v4, -v6, v14, v4
	v_fmac_f16_e32 v21, v15, v6
	v_fmac_f16_e32 v13, v6, v14
	v_fmac_f16_e32 v3, v15, v6
	v_pack_b32_f16 v4, v4, v21
	v_pack_b32_f16 v3, v13, v3
	ds_write_b32 v51, v4 offset:448
	ds_write_b32 v2, v3 offset:7392
	ds_read_b32 v3, v51 offset:672
	ds_read_b32 v4, v2 offset:7168
	global_load_dword v15, v[0:1], off offset:192
	s_waitcnt lgkmcnt(0)
	v_add_f16_e32 v6, v3, v4
	v_add_f16_sdwa v13, v4, v3 dst_sel:DWORD dst_unused:UNUSED_PAD src0_sel:WORD_1 src1_sel:WORD_1
	v_sub_f16_e32 v14, v3, v4
	v_sub_f16_sdwa v3, v3, v4 dst_sel:DWORD dst_unused:UNUSED_PAD src0_sel:WORD_1 src1_sel:WORD_1
	v_fma_f16 v4, v14, v5, v6
	v_fma_f16 v21, v13, v5, v3
	v_fma_f16 v6, -v14, v5, v6
	v_fma_f16 v3, v13, v5, -v3
	s_waitcnt vmcnt(6)
	v_lshrrev_b32_e32 v5, 16, v8
	v_fma_f16 v4, -v7, v13, v4
	v_fmac_f16_e32 v21, v14, v7
	v_fmac_f16_e32 v6, v7, v13
	v_fmac_f16_e32 v3, v14, v7
	v_pack_b32_f16 v4, v4, v21
	v_pack_b32_f16 v3, v6, v3
	ds_write_b32 v51, v4 offset:672
	ds_write_b32 v2, v3 offset:7168
	ds_read_b32 v3, v51 offset:896
	ds_read_b32 v4, v2 offset:6944
	global_load_dword v14, v[0:1], off offset:416
	;; [unrolled: 22-line block ×6, first 2 shown]
	s_waitcnt lgkmcnt(0)
	v_add_f16_e32 v6, v3, v4
	v_add_f16_sdwa v7, v4, v3 dst_sel:DWORD dst_unused:UNUSED_PAD src0_sel:WORD_1 src1_sel:WORD_1
	v_sub_f16_e32 v8, v3, v4
	v_sub_f16_sdwa v3, v3, v4 dst_sel:DWORD dst_unused:UNUSED_PAD src0_sel:WORD_1 src1_sel:WORD_1
	v_fma_f16 v4, v8, v5, v6
	v_fma_f16 v21, v7, v5, v3
	v_fma_f16 v6, -v8, v5, v6
	v_fma_f16 v3, v7, v5, -v3
	v_mov_b32_e32 v5, 0
	v_fma_f16 v4, -v12, v7, v4
	v_fmac_f16_e32 v21, v8, v12
	v_fmac_f16_e32 v6, v12, v7
	;; [unrolled: 1-line block ×3, first 2 shown]
	v_pack_b32_f16 v7, v4, v21
	v_or_b32_e32 v4, 0x380, v16
	v_pack_b32_f16 v3, v6, v3
	ds_write_b32 v51, v7 offset:1792
	ds_write_b32 v2, v3 offset:6048
	v_lshlrev_b64 v[5:6], 2, v[4:5]
	ds_read_b32 v3, v51 offset:2016
	ds_read_b32 v7, v2 offset:5824
	v_add_co_u32 v5, s0, s1, v5
	v_add_co_ci_u32_e64 v6, s0, s4, v6, s0
	v_cmp_gt_u32_e64 s0, 28, v16
	global_load_dword v5, v[5:6], off
	s_waitcnt vmcnt(7)
	v_lshrrev_b32_e32 v6, 16, v17
	s_waitcnt lgkmcnt(0)
	v_add_f16_e32 v8, v3, v7
	v_add_f16_sdwa v12, v7, v3 dst_sel:DWORD dst_unused:UNUSED_PAD src0_sel:WORD_1 src1_sel:WORD_1
	v_sub_f16_e32 v21, v3, v7
	v_sub_f16_sdwa v3, v3, v7 dst_sel:DWORD dst_unused:UNUSED_PAD src0_sel:WORD_1 src1_sel:WORD_1
	v_fma_f16 v7, v21, v6, v8
	v_fma_f16 v22, v12, v6, v3
	v_fma_f16 v8, -v21, v6, v8
	v_fma_f16 v3, v12, v6, -v3
	v_fma_f16 v6, -v17, v12, v7
	v_fmac_f16_e32 v22, v21, v17
	v_fmac_f16_e32 v8, v17, v12
	v_fmac_f16_e32 v3, v21, v17
	v_pack_b32_f16 v6, v6, v22
	v_pack_b32_f16 v3, v8, v3
	ds_write_b32 v51, v6 offset:2016
	ds_write_b32 v2, v3 offset:5824
	ds_read_b32 v3, v51 offset:2240
	ds_read_b32 v6, v2 offset:5600
	s_waitcnt vmcnt(6)
	v_lshrrev_b32_e32 v7, 16, v15
	s_waitcnt lgkmcnt(0)
	v_add_f16_e32 v8, v3, v6
	v_add_f16_sdwa v12, v6, v3 dst_sel:DWORD dst_unused:UNUSED_PAD src0_sel:WORD_1 src1_sel:WORD_1
	v_sub_f16_e32 v17, v3, v6
	v_sub_f16_sdwa v3, v3, v6 dst_sel:DWORD dst_unused:UNUSED_PAD src0_sel:WORD_1 src1_sel:WORD_1
	v_fma_f16 v6, v17, v7, v8
	v_fma_f16 v21, v12, v7, v3
	v_fma_f16 v8, -v17, v7, v8
	v_fma_f16 v3, v12, v7, -v3
	v_fma_f16 v6, -v15, v12, v6
	v_fmac_f16_e32 v21, v17, v15
	v_fmac_f16_e32 v8, v15, v12
	v_fmac_f16_e32 v3, v17, v15
	v_pack_b32_f16 v6, v6, v21
	v_pack_b32_f16 v3, v8, v3
	ds_write_b32 v51, v6 offset:2240
	ds_write_b32 v2, v3 offset:5600
	ds_read_b32 v3, v51 offset:2464
	ds_read_b32 v6, v2 offset:5376
	s_waitcnt vmcnt(5)
	v_lshrrev_b32_e32 v7, 16, v14
	s_waitcnt lgkmcnt(0)
	v_add_f16_e32 v8, v3, v6
	v_add_f16_sdwa v12, v6, v3 dst_sel:DWORD dst_unused:UNUSED_PAD src0_sel:WORD_1 src1_sel:WORD_1
	v_sub_f16_e32 v15, v3, v6
	v_sub_f16_sdwa v3, v3, v6 dst_sel:DWORD dst_unused:UNUSED_PAD src0_sel:WORD_1 src1_sel:WORD_1
	v_fma_f16 v6, v15, v7, v8
	v_fma_f16 v17, v12, v7, v3
	v_fma_f16 v8, -v15, v7, v8
	v_fma_f16 v3, v12, v7, -v3
	v_fma_f16 v6, -v14, v12, v6
	v_fmac_f16_e32 v17, v15, v14
	v_fmac_f16_e32 v8, v14, v12
	v_fmac_f16_e32 v3, v15, v14
	v_pack_b32_f16 v6, v6, v17
	v_pack_b32_f16 v3, v8, v3
	ds_write_b32 v51, v6 offset:2464
	ds_write_b32 v2, v3 offset:5376
	ds_read_b32 v3, v51 offset:2688
	ds_read_b32 v6, v2 offset:5152
	s_waitcnt vmcnt(4)
	v_lshrrev_b32_e32 v7, 16, v13
	s_waitcnt lgkmcnt(0)
	v_add_f16_e32 v8, v3, v6
	v_add_f16_sdwa v12, v6, v3 dst_sel:DWORD dst_unused:UNUSED_PAD src0_sel:WORD_1 src1_sel:WORD_1
	v_sub_f16_e32 v14, v3, v6
	v_sub_f16_sdwa v3, v3, v6 dst_sel:DWORD dst_unused:UNUSED_PAD src0_sel:WORD_1 src1_sel:WORD_1
	v_fma_f16 v6, v14, v7, v8
	v_fma_f16 v15, v12, v7, v3
	v_fma_f16 v8, -v14, v7, v8
	v_fma_f16 v3, v12, v7, -v3
	v_fma_f16 v6, -v13, v12, v6
	v_fmac_f16_e32 v15, v14, v13
	v_fmac_f16_e32 v8, v13, v12
	v_fmac_f16_e32 v3, v14, v13
	v_pack_b32_f16 v6, v6, v15
	v_pack_b32_f16 v3, v8, v3
	ds_write_b32 v51, v6 offset:2688
	ds_write_b32 v2, v3 offset:5152
	ds_read_b32 v3, v51 offset:2912
	ds_read_b32 v6, v2 offset:4928
	s_waitcnt vmcnt(3)
	v_lshrrev_b32_e32 v7, 16, v9
	s_waitcnt lgkmcnt(0)
	v_add_f16_e32 v8, v3, v6
	v_add_f16_sdwa v12, v6, v3 dst_sel:DWORD dst_unused:UNUSED_PAD src0_sel:WORD_1 src1_sel:WORD_1
	v_sub_f16_e32 v13, v3, v6
	v_sub_f16_sdwa v3, v3, v6 dst_sel:DWORD dst_unused:UNUSED_PAD src0_sel:WORD_1 src1_sel:WORD_1
	v_fma_f16 v6, v13, v7, v8
	v_fma_f16 v14, v12, v7, v3
	v_fma_f16 v8, -v13, v7, v8
	v_fma_f16 v3, v12, v7, -v3
	v_fma_f16 v6, -v9, v12, v6
	v_fmac_f16_e32 v14, v13, v9
	v_fmac_f16_e32 v8, v9, v12
	v_fmac_f16_e32 v3, v13, v9
	v_pack_b32_f16 v6, v6, v14
	v_pack_b32_f16 v3, v8, v3
	ds_write_b32 v51, v6 offset:2912
	ds_write_b32 v2, v3 offset:4928
	ds_read_b32 v3, v51 offset:3136
	ds_read_b32 v6, v2 offset:4704
	s_waitcnt vmcnt(2)
	v_lshrrev_b32_e32 v7, 16, v10
	s_waitcnt lgkmcnt(0)
	v_add_f16_e32 v8, v3, v6
	v_add_f16_sdwa v9, v6, v3 dst_sel:DWORD dst_unused:UNUSED_PAD src0_sel:WORD_1 src1_sel:WORD_1
	v_sub_f16_e32 v12, v3, v6
	v_sub_f16_sdwa v3, v3, v6 dst_sel:DWORD dst_unused:UNUSED_PAD src0_sel:WORD_1 src1_sel:WORD_1
	v_fma_f16 v6, v12, v7, v8
	v_fma_f16 v13, v9, v7, v3
	v_fma_f16 v8, -v12, v7, v8
	v_fma_f16 v3, v9, v7, -v3
	v_fma_f16 v6, -v10, v9, v6
	v_fmac_f16_e32 v13, v12, v10
	v_fmac_f16_e32 v8, v10, v9
	v_fmac_f16_e32 v3, v12, v10
	v_pack_b32_f16 v6, v6, v13
	v_pack_b32_f16 v3, v8, v3
	ds_write_b32 v51, v6 offset:3136
	ds_write_b32 v2, v3 offset:4704
	ds_read_b32 v3, v51 offset:3360
	ds_read_b32 v6, v2 offset:4480
	s_waitcnt vmcnt(1)
	v_lshrrev_b32_e32 v7, 16, v11
	s_waitcnt lgkmcnt(0)
	v_add_f16_e32 v8, v3, v6
	v_add_f16_sdwa v9, v6, v3 dst_sel:DWORD dst_unused:UNUSED_PAD src0_sel:WORD_1 src1_sel:WORD_1
	v_sub_f16_e32 v10, v3, v6
	v_sub_f16_sdwa v3, v3, v6 dst_sel:DWORD dst_unused:UNUSED_PAD src0_sel:WORD_1 src1_sel:WORD_1
	v_fma_f16 v6, v10, v7, v8
	v_fma_f16 v12, v9, v7, v3
	v_fma_f16 v8, -v10, v7, v8
	v_fma_f16 v3, v9, v7, -v3
	v_fma_f16 v6, -v11, v9, v6
	v_fmac_f16_e32 v12, v10, v11
	v_fmac_f16_e32 v8, v11, v9
	v_fmac_f16_e32 v3, v10, v11
	v_pack_b32_f16 v6, v6, v12
	v_pack_b32_f16 v3, v8, v3
	ds_write_b32 v51, v6 offset:3360
	ds_write_b32 v2, v3 offset:4480
	ds_read_b32 v3, v51 offset:3584
	ds_read_b32 v6, v2 offset:4256
	s_waitcnt vmcnt(0)
	v_lshrrev_b32_e32 v7, 16, v5
	s_waitcnt lgkmcnt(0)
	v_add_f16_e32 v8, v3, v6
	v_add_f16_sdwa v9, v6, v3 dst_sel:DWORD dst_unused:UNUSED_PAD src0_sel:WORD_1 src1_sel:WORD_1
	v_sub_f16_e32 v10, v3, v6
	v_sub_f16_sdwa v3, v3, v6 dst_sel:DWORD dst_unused:UNUSED_PAD src0_sel:WORD_1 src1_sel:WORD_1
	v_fma_f16 v6, v10, v7, v8
	v_fma_f16 v11, v9, v7, v3
	v_fma_f16 v8, -v10, v7, v8
	v_fma_f16 v3, v9, v7, -v3
	v_fma_f16 v6, -v5, v9, v6
	v_fmac_f16_e32 v11, v10, v5
	v_fmac_f16_e32 v8, v5, v9
	;; [unrolled: 1-line block ×3, first 2 shown]
	v_pack_b32_f16 v5, v6, v11
	v_pack_b32_f16 v3, v8, v3
	ds_write_b32 v51, v5 offset:3584
	ds_write_b32 v2, v3 offset:4256
	s_and_saveexec_b32 s1, s0
	s_cbranch_execz .LBB0_19
; %bb.18:
	global_load_dword v0, v[0:1], off offset:1760
	ds_read_b32 v1, v51 offset:3808
	ds_read_b32 v3, v2 offset:4032
	s_waitcnt lgkmcnt(0)
	v_add_f16_e32 v5, v1, v3
	v_add_f16_sdwa v6, v3, v1 dst_sel:DWORD dst_unused:UNUSED_PAD src0_sel:WORD_1 src1_sel:WORD_1
	v_sub_f16_e32 v7, v1, v3
	v_sub_f16_sdwa v1, v1, v3 dst_sel:DWORD dst_unused:UNUSED_PAD src0_sel:WORD_1 src1_sel:WORD_1
	s_waitcnt vmcnt(0)
	v_lshrrev_b32_e32 v8, 16, v0
	v_fma_f16 v3, v7, v8, v5
	v_fma_f16 v9, v6, v8, v1
	v_fma_f16 v5, -v7, v8, v5
	v_fma_f16 v1, v6, v8, -v1
	v_fma_f16 v3, -v0, v6, v3
	v_fmac_f16_e32 v9, v7, v0
	v_fmac_f16_e32 v5, v0, v6
	;; [unrolled: 1-line block ×3, first 2 shown]
	v_pack_b32_f16 v0, v3, v9
	v_pack_b32_f16 v1, v5, v1
	ds_write_b32 v51, v0 offset:3808
	ds_write_b32 v2, v1 offset:4032
.LBB0_19:
	s_or_b32 exec_lo, exec_lo, s1
	v_add_nc_u32_e32 v30, 0x400, v51
	v_add_nc_u32_e32 v2, 0xe00, v51
	;; [unrolled: 1-line block ×3, first 2 shown]
	s_waitcnt lgkmcnt(0)
	s_barrier
	buffer_gl0_inv
	s_barrier
	buffer_gl0_inv
	ds_read2_b32 v[0:1], v30 offset0:192 offset1:234
	v_add_nc_u32_e32 v31, 0xc00, v51
	v_add_nc_u32_e32 v11, 0x1c00, v51
	ds_read2_b32 v[7:8], v51 offset1:56
	ds_read2_b32 v[9:10], v2 offset0:84 offset1:140
	ds_read2_b32 v[5:6], v32 offset0:148 offset1:190
	;; [unrolled: 1-line block ×4, first 2 shown]
	v_add_nc_u32_e32 v33, 0x800, v51
	v_add_nc_u32_e32 v15, 0x1600, v51
	ds_read2_b32 v[13:14], v33 offset0:34 offset1:90
	ds_read2_b32 v[21:22], v15 offset0:118 offset1:174
	v_add_nc_u32_e32 v35, 0x1000, v51
	ds_read2_b32 v[26:27], v51 offset0:112 offset1:168
	ds_read2_b32 v[28:29], v35 offset0:68 offset1:124
	v_add_nc_u32_e32 v23, 56, v16
	v_lshl_add_u32 v37, v16, 4, 0
	v_add_nc_u32_e32 v17, 0x70, v16
	v_add_nc_u32_e32 v49, 0xa8, v16
	;; [unrolled: 1-line block ×3, first 2 shown]
	s_waitcnt lgkmcnt(7)
	v_pk_add_f16 v9, v7, v9 neg_lo:[0,1] neg_hi:[0,1]
	s_waitcnt lgkmcnt(6)
	v_pk_add_f16 v34, v1, v6 neg_lo:[0,1] neg_hi:[0,1]
	v_pk_add_f16 v39, v8, v10 neg_lo:[0,1] neg_hi:[0,1]
	s_waitcnt lgkmcnt(4)
	v_pk_add_f16 v6, v3, v12 neg_lo:[0,1] neg_hi:[0,1]
	v_lshl_add_u32 v43, v23, 4, 0
	v_pk_fma_f16 v7, v7, 2.0, v9 op_sel_hi:[1,0,1] neg_lo:[0,0,1] neg_hi:[0,0,1]
	v_pk_fma_f16 v12, v1, 2.0, v34 op_sel_hi:[1,0,1] neg_lo:[0,0,1] neg_hi:[0,0,1]
	v_lshrrev_b32_e32 v10, 16, v9
	v_pk_add_f16 v11, v2, v11 neg_lo:[0,1] neg_hi:[0,1]
	s_waitcnt lgkmcnt(2)
	v_pk_add_f16 v21, v13, v21 neg_lo:[0,1] neg_hi:[0,1]
	v_pk_add_f16 v22, v14, v22 neg_lo:[0,1] neg_hi:[0,1]
	;; [unrolled: 1-line block ×3, first 2 shown]
	v_alignbit_b32 v12, s0, v34, 16
	v_pk_fma_f16 v2, v2, 2.0, v11 op_sel_hi:[1,0,1] neg_lo:[0,0,1] neg_hi:[0,0,1]
	s_waitcnt lgkmcnt(0)
	v_pk_add_f16 v28, v26, v28 neg_lo:[0,1] neg_hi:[0,1]
	v_pk_fma_f16 v14, v14, 2.0, v22 op_sel_hi:[1,0,1] neg_lo:[0,0,1] neg_hi:[0,0,1]
	v_pk_fma_f16 v38, v7, 2.0, v36 op_sel_hi:[1,0,1] neg_lo:[0,0,1] neg_hi:[0,0,1]
	v_alignbit_b32 v7, s0, v9, 16
	v_pk_add_f16 v40, v9, v12 neg_lo:[0,1] neg_hi:[0,1]
	v_pk_fma_f16 v12, v8, 2.0, v39 op_sel_hi:[1,0,1] neg_lo:[0,0,1] neg_hi:[0,0,1]
	v_alignbit_b32 v8, s0, v21, 16
	v_pk_fma_f16 v26, v26, 2.0, v28 op_sel_hi:[1,0,1] neg_lo:[0,0,1] neg_hi:[0,0,1]
	v_pk_add_f16 v34, v7, v34
	v_pk_fma_f16 v7, v13, 2.0, v21 op_sel_hi:[1,0,1] neg_lo:[0,0,1] neg_hi:[0,0,1]
	v_alignbit_b32 v13, s0, v39, 16
	v_fma_f16 v41, v9, 2.0, -v40
	v_add_nc_u32_e32 v9, 0x1800, v51
	v_fma_f16 v42, v10, 2.0, -v34
	v_pk_add_f16 v44, v12, v7 neg_lo:[0,1] neg_hi:[0,1]
	v_pk_add_f16 v45, v39, v8 neg_lo:[0,1] neg_hi:[0,1]
	ds_read2_b32 v[7:8], v33 offset0:146 offset1:202
	ds_read2_b32 v[9:10], v9 offset0:102 offset1:158
	v_lshrrev_b32_e32 v33, 16, v39
	v_pk_add_f16 v46, v13, v21
	v_pk_fma_f16 v47, v12, 2.0, v44 op_sel_hi:[1,0,1] neg_lo:[0,0,1] neg_hi:[0,0,1]
	v_alignbit_b32 v12, s0, v22, 16
	v_pk_add_f16 v14, v26, v14 neg_lo:[0,1] neg_hi:[0,1]
	v_alignbit_b32 v13, s0, v28, 16
	v_pk_add_f16 v56, v27, v29 neg_lo:[0,1] neg_hi:[0,1]
	v_lshrrev_b32_e32 v57, 16, v28
	v_pk_add_f16 v54, v28, v12 neg_lo:[0,1] neg_hi:[0,1]
	v_add_nc_u32_e32 v12, 0x200, v51
	v_fma_f16 v48, v33, 2.0, -v46
	v_pk_fma_f16 v55, v26, 2.0, v14 op_sel_hi:[1,0,1] neg_lo:[0,0,1] neg_hi:[0,0,1]
	v_pk_add_f16 v58, v13, v22
	v_fma_f16 v59, v28, 2.0, -v54
	v_add_nc_u32_e32 v28, 0x1a00, v51
	v_pk_fma_f16 v60, v27, 2.0, v56 op_sel_hi:[1,0,1] neg_lo:[0,0,1] neg_hi:[0,0,1]
	ds_read2_b32 v[12:13], v12 offset0:96 offset1:152
	ds_read2_b32 v[21:22], v35 offset0:180 offset1:236
	;; [unrolled: 1-line block ×6, first 2 shown]
	v_fma_f16 v39, v39, 2.0, -v45
	v_pack_b32_f16 v35, v41, v42
	s_waitcnt lgkmcnt(6)
	v_pk_add_f16 v9, v7, v9 neg_lo:[0,1] neg_hi:[0,1]
	v_pk_add_f16 v10, v8, v10 neg_lo:[0,1] neg_hi:[0,1]
	v_pack_b32_f16 v34, v40, v34
	v_pack_b32_f16 v39, v39, v48
	v_alignbit_b32 v61, s0, v56, 16
	s_waitcnt lgkmcnt(0)
	s_barrier
	buffer_gl0_inv
	ds_write2_b32 v37, v38, v35 offset1:1
	v_fma_f16 v38, v57, 2.0, -v58
	v_alignbit_b32 v35, s0, v9, 16
	ds_write2_b32 v43, v47, v39 offset1:1
	ds_write2_b32 v37, v36, v34 offset0:2 offset1:3
	v_pk_add_f16 v22, v13, v22 neg_lo:[0,1] neg_hi:[0,1]
	v_pk_add_f16 v21, v12, v21 neg_lo:[0,1] neg_hi:[0,1]
	;; [unrolled: 1-line block ×6, first 2 shown]
	v_alignbit_b32 v57, s0, v22, 16
	v_alignbit_b32 v36, s0, v10, 16
	;; [unrolled: 1-line block ×4, first 2 shown]
	v_pk_fma_f16 v7, v7, 2.0, v9 op_sel_hi:[1,0,1] neg_lo:[0,0,1] neg_hi:[0,0,1]
	v_pk_add_f16 v9, v61, v9
	v_alignbit_b32 v61, s0, v33, 16
	v_pk_fma_f16 v26, v26, 2.0, v28 op_sel_hi:[1,0,1] neg_lo:[0,0,1] neg_hi:[0,0,1]
	v_pk_add_f16 v57, v57, v28
	v_alignbit_b32 v28, s0, v28, 16
	v_pk_add_f16 v35, v56, v35 neg_lo:[0,1] neg_hi:[0,1]
	v_lshrrev_b32_e32 v42, 16, v56
	v_pk_fma_f16 v27, v27, 2.0, v29 op_sel_hi:[1,0,1] neg_lo:[0,0,1] neg_hi:[0,0,1]
	v_pk_add_f16 v39, v39, v29
	v_alignbit_b32 v29, s0, v29, 16
	v_pk_fma_f16 v8, v8, 2.0, v10 op_sel_hi:[1,0,1] neg_lo:[0,0,1] neg_hi:[0,0,1]
	v_pk_fma_f16 v12, v12, 2.0, v21 op_sel_hi:[1,0,1] neg_lo:[0,0,1] neg_hi:[0,0,1]
	v_pk_add_f16 v36, v21, v36 neg_lo:[0,1] neg_hi:[0,1]
	v_pk_add_f16 v10, v37, v10
	v_lshrrev_b32_e32 v37, 16, v21
	v_pack_b32_f16 v38, v59, v38
	v_pk_add_f16 v59, v61, v11
	v_alignbit_b32 v11, s0, v11, 16
	v_pk_fma_f16 v13, v13, 2.0, v22 op_sel_hi:[1,0,1] neg_lo:[0,0,1] neg_hi:[0,0,1]
	v_pk_add_f16 v28, v22, v28 neg_lo:[0,1] neg_hi:[0,1]
	v_lshrrev_b32_e32 v47, 16, v22
	v_pk_add_f16 v7, v60, v7 neg_lo:[0,1] neg_hi:[0,1]
	v_fma_f16 v56, v56, 2.0, -v35
	v_fma_f16 v42, v42, 2.0, -v9
	v_pk_add_f16 v5, v0, v5 neg_lo:[0,1] neg_hi:[0,1]
	v_pk_fma_f16 v30, v30, 2.0, v32 op_sel_hi:[1,0,1] neg_lo:[0,0,1] neg_hi:[0,0,1]
	v_pk_add_f16 v29, v32, v29 neg_lo:[0,1] neg_hi:[0,1]
	v_pack_b32_f16 v45, v45, v46
	v_lshrrev_b32_e32 v46, 16, v32
	v_pk_add_f16 v8, v12, v8 neg_lo:[0,1] neg_hi:[0,1]
	v_fma_f16 v21, v21, 2.0, -v36
	v_fma_f16 v37, v37, 2.0, -v10
	v_lshl_add_u32 v52, v17, 4, 0
	v_pk_fma_f16 v31, v31, 2.0, v33 op_sel_hi:[1,0,1] neg_lo:[0,0,1] neg_hi:[0,0,1]
	v_pk_add_f16 v11, v33, v11 neg_lo:[0,1] neg_hi:[0,1]
	v_pack_b32_f16 v54, v54, v58
	v_lshrrev_b32_e32 v58, 16, v33
	v_add_nc_u32_e32 v24, 0x118, v16
	v_pk_add_f16 v26, v13, v26 neg_lo:[0,1] neg_hi:[0,1]
	v_fma_f16 v22, v22, 2.0, -v28
	v_fma_f16 v47, v47, 2.0, -v57
	v_lshl_add_u32 v41, v49, 4, 0
	v_pk_fma_f16 v40, v60, 2.0, v7 op_sel_hi:[1,0,1] neg_lo:[0,0,1] neg_hi:[0,0,1]
	v_pack_b32_f16 v42, v56, v42
	v_add_nc_u32_e32 v53, 0x150, v16
	v_pk_add_f16 v1, v5, v6 op_sel:[0,1] op_sel_hi:[1,0]
	v_pk_add_f16 v27, v30, v27 neg_lo:[0,1] neg_hi:[0,1]
	v_fma_f16 v32, v32, 2.0, -v29
	v_fma_f16 v46, v46, 2.0, -v39
	v_pack_b32_f16 v9, v35, v9
	v_lshl_add_u32 v34, v50, 4, 0
	v_pk_fma_f16 v12, v12, 2.0, v8 op_sel_hi:[1,0,1] neg_lo:[0,0,1] neg_hi:[0,0,1]
	ds_write2_b32 v43, v44, v45 offset0:2 offset1:3
	ds_write2_b32 v52, v55, v38 offset1:1
	ds_write2_b32 v52, v14, v54 offset0:2 offset1:3
	ds_write2_b32 v41, v40, v42 offset1:1
	v_pack_b32_f16 v14, v21, v37
	v_add_nc_u32_e32 v25, 0x188, v16
	v_pk_add_f16 v2, v31, v2 neg_lo:[0,1] neg_hi:[0,1]
	v_fma_f16 v33, v33, 2.0, -v11
	v_fma_f16 v58, v58, 2.0, -v59
	v_pack_b32_f16 v10, v36, v10
	v_lshl_add_u32 v48, v24, 4, 0
	v_pk_fma_f16 v13, v13, 2.0, v26 op_sel_hi:[1,0,1] neg_lo:[0,0,1] neg_hi:[0,0,1]
	v_pack_b32_f16 v21, v22, v47
	v_pack_b32_f16 v22, v28, v57
	v_pk_add_f16 v15, v5, v6 op_sel:[0,1] op_sel_hi:[1,0] neg_lo:[0,1] neg_hi:[0,1]
	v_lshl_add_u32 v60, v53, 4, 0
	v_pk_fma_f16 v30, v30, 2.0, v27 op_sel_hi:[1,0,1] neg_lo:[0,0,1] neg_hi:[0,0,1]
	ds_write2_b32 v41, v7, v9 offset0:2 offset1:3
	ds_write2_b32 v34, v12, v14 offset1:1
	ds_write2_b32 v34, v8, v10 offset0:2 offset1:3
	ds_write2_b32 v48, v13, v21 offset1:1
	ds_write2_b32 v48, v26, v22 offset0:2 offset1:3
	v_pack_b32_f16 v7, v32, v46
	v_cmp_lt_u32_e64 s1, 41, v16
	v_lshrrev_b32_e32 v52, 16, v1
	v_pack_b32_f16 v8, v29, v39
	v_lshl_add_u32 v56, v25, 4, 0
	v_pk_fma_f16 v31, v31, 2.0, v2 op_sel_hi:[1,0,1] neg_lo:[0,0,1] neg_hi:[0,0,1]
	v_pack_b32_f16 v9, v33, v58
	v_pack_b32_f16 v10, v11, v59
	ds_write2_b32 v60, v30, v7 offset1:1
	ds_write2_b32 v60, v27, v8 offset0:2 offset1:3
	ds_write2_b32 v56, v31, v9 offset1:1
	ds_write2_b32 v56, v2, v10 offset0:2 offset1:3
	s_and_saveexec_b32 s4, s1
	s_xor_b32 s1, exec_lo, s4
; %bb.20:
                                        ; implicit-def: $vgpr0_vgpr1
                                        ; implicit-def: $vgpr5
                                        ; implicit-def: $vgpr2_vgpr3
                                        ; implicit-def: $vgpr6
                                        ; implicit-def: $vgpr1
; %bb.21:
	s_or_saveexec_b32 s1, s1
	v_or_b32_e32 v26, 0x1c0, v16
	s_xor_b32 exec_lo, exec_lo, s1
	s_cbranch_execz .LBB0_23
; %bb.22:
	v_pk_fma_f16 v0, v0, 2.0, v5 op_sel_hi:[1,0,1] neg_lo:[0,0,1] neg_hi:[0,0,1]
	v_pk_fma_f16 v2, v3, 2.0, v6 op_sel_hi:[1,0,1] neg_lo:[0,0,1] neg_hi:[0,0,1]
	v_bfi_b32 v1, 0xffff, v15, v1
	v_lshl_add_u32 v3, v26, 4, 0
	v_pk_add_f16 v2, v0, v2 neg_lo:[0,1] neg_hi:[0,1]
	v_pk_fma_f16 v5, v5, 2.0, v1 op_sel_hi:[1,0,1] neg_lo:[0,0,1] neg_hi:[0,0,1]
	v_pk_fma_f16 v0, v0, 2.0, v2 op_sel_hi:[1,0,1] neg_lo:[0,0,1] neg_hi:[0,0,1]
	ds_write2_b32 v3, v0, v5 offset1:1
	ds_write2_b32 v3, v2, v1 offset0:2 offset1:3
.LBB0_23:
	s_or_b32 exec_lo, exec_lo, s1
	v_and_b32_e32 v14, 3, v16
	s_waitcnt lgkmcnt(0)
	s_barrier
	buffer_gl0_inv
	v_add_nc_u32_e32 v11, 0x800, v51
	v_mul_u32_u24_e32 v0, 6, v14
	v_add_nc_u32_e32 v12, 0x1000, v51
	v_add_nc_u32_e32 v9, 0x400, v51
	;; [unrolled: 1-line block ×4, first 2 shown]
	v_lshlrev_b32_e32 v5, 2, v0
	v_add_nc_u32_e32 v7, 0xe00, v51
	v_add_nc_u32_e32 v21, 0x200, v51
	v_lshrrev_b32_e32 v8, 2, v16
	v_add_nc_u32_e32 v22, 0x1400, v51
	s_clause 0x1
	global_load_dwordx4 v[0:3], v5, s[8:9]
	global_load_dwordx2 v[5:6], v5, s[8:9] offset:16
	ds_read_b32 v29, v51 offset:7616
	ds_read2_b32 v[31:32], v51 offset1:56
	ds_read2_b32 v[33:34], v51 offset0:112 offset1:168
	ds_read2_b32 v[35:36], v11 offset0:48 offset1:104
	;; [unrolled: 1-line block ×10, first 2 shown]
	v_add_nc_u32_e32 v27, 0x1800, v51
	v_mul_u32_u24_e32 v62, 28, v8
	ds_read2_b32 v[7:8], v21 offset0:96 offset1:152
	ds_read2_b32 v[58:59], v22 offset0:64 offset1:120
	;; [unrolled: 1-line block ×3, first 2 shown]
	v_add_nc_u32_e32 v28, 0x1c00, v51
	v_lshrrev_b32_e32 v30, 2, v23
	v_or_b32_e32 v68, v62, v14
	ds_read2_b32 v[62:63], v22 offset0:176 offset1:232
	ds_read2_b32 v[64:65], v28 offset1:56
	ds_read2_b32 v[66:67], v27 offset0:32 offset1:88
	s_waitcnt vmcnt(0) lgkmcnt(0)
	v_mul_u32_u24_e32 v30, 28, v30
	v_lshrrev_b32_e32 v70, 16, v35
	v_lshrrev_b32_e32 v71, 16, v37
	;; [unrolled: 1-line block ×29, first 2 shown]
	v_or_b32_e32 v30, v30, v14
	v_lshl_add_u32 v68, v68, 2, 0
	s_barrier
	buffer_gl0_inv
	v_lshl_add_u32 v30, v30, 2, 0
	v_mul_f16_sdwa v98, v70, v1 dst_sel:DWORD dst_unused:UNUSED_PAD src0_sel:DWORD src1_sel:WORD_1
	v_mul_f16_sdwa v100, v71, v3 dst_sel:DWORD dst_unused:UNUSED_PAD src0_sel:DWORD src1_sel:WORD_1
	;; [unrolled: 1-line block ×14, first 2 shown]
	v_fma_f16 v35, v35, v1, -v98
	v_mul_f16_sdwa v98, v81, v1 dst_sel:DWORD dst_unused:UNUSED_PAD src0_sel:DWORD src1_sel:WORD_1
	v_fma_f16 v37, v37, v3, -v100
	v_mul_f16_sdwa v100, v82, v3 dst_sel:DWORD dst_unused:UNUSED_PAD src0_sel:DWORD src1_sel:WORD_1
	;; [unrolled: 2-line block ×4, first 2 shown]
	v_mul_f16_sdwa v105, v36, v1 dst_sel:DWORD dst_unused:UNUSED_PAD src0_sel:DWORD src1_sel:WORD_1
	v_mul_f16_sdwa v109, v38, v3 dst_sel:DWORD dst_unused:UNUSED_PAD src0_sel:DWORD src1_sel:WORD_1
	;; [unrolled: 1-line block ×5, first 2 shown]
	v_fma_f16 v36, v36, v1, -v104
	v_mul_f16_sdwa v104, v45, v3 dst_sel:DWORD dst_unused:UNUSED_PAD src0_sel:DWORD src1_sel:WORD_1
	v_fma_f16 v38, v38, v3, -v108
	v_mul_f16_sdwa v108, v44, v1 dst_sel:DWORD dst_unused:UNUSED_PAD src0_sel:DWORD src1_sel:WORD_1
	;; [unrolled: 2-line block ×4, first 2 shown]
	v_fma_f16 v43, v43, v1, -v112
	v_fma_f16 v44, v44, v1, -v98
	v_mul_f16_sdwa v98, v48, v0 dst_sel:DWORD dst_unused:UNUSED_PAD src0_sel:DWORD src1_sel:WORD_1
	v_mul_f16_sdwa v112, v84, v2 dst_sel:DWORD dst_unused:UNUSED_PAD src0_sel:DWORD src1_sel:WORD_1
	v_fma_f16 v45, v45, v3, -v116
	v_fma_f16 v46, v46, v3, -v100
	v_mul_f16_sdwa v100, v85, v1 dst_sel:DWORD dst_unused:UNUSED_PAD src0_sel:DWORD src1_sel:WORD_1
	v_mul_f16_sdwa v116, v55, v2 dst_sel:DWORD dst_unused:UNUSED_PAD src0_sel:DWORD src1_sel:WORD_1
	;; [unrolled: 4-line block ×4, first 2 shown]
	v_fma_f16 v56, v56, v2, -v102
	v_fma_f16 v102, v57, v2, -v106
	v_mul_f16_sdwa v57, v57, v2 dst_sel:DWORD dst_unused:UNUSED_PAD src0_sel:DWORD src1_sel:WORD_1
	v_lshrrev_b32_e32 v106, 16, v67
	v_fmac_f16_e32 v99, v70, v1
	v_mul_f16_sdwa v70, v8, v0 dst_sel:DWORD dst_unused:UNUSED_PAD src0_sel:DWORD src1_sel:WORD_1
	v_fmac_f16_e32 v116, v84, v2
	v_mul_f16_sdwa v84, v88, v0 dst_sel:DWORD dst_unused:UNUSED_PAD src0_sel:DWORD src1_sel:WORD_1
	v_fmac_f16_e32 v101, v71, v3
	v_mul_f16_sdwa v71, v58, v3 dst_sel:DWORD dst_unused:UNUSED_PAD src0_sel:DWORD src1_sel:WORD_1
	v_fmac_f16_e32 v103, v72, v0
	v_mul_f16_sdwa v72, v89, v3 dst_sel:DWORD dst_unused:UNUSED_PAD src0_sel:DWORD src1_sel:WORD_1
	v_fmac_f16_e32 v105, v73, v1
	v_mul_f16_sdwa v73, v90, v5 dst_sel:DWORD dst_unused:UNUSED_PAD src0_sel:DWORD src1_sel:WORD_1
	v_fmac_f16_e32 v107, v74, v2
	v_mul_f16_sdwa v74, v59, v5 dst_sel:DWORD dst_unused:UNUSED_PAD src0_sel:DWORD src1_sel:WORD_1
	v_fmac_f16_e32 v109, v75, v3
	v_mul_f16_sdwa v75, v91, v6 dst_sel:DWORD dst_unused:UNUSED_PAD src0_sel:DWORD src1_sel:WORD_1
	v_fmac_f16_e32 v111, v76, v0
	v_mul_f16_sdwa v76, v92, v6 dst_sel:DWORD dst_unused:UNUSED_PAD src0_sel:DWORD src1_sel:WORD_1
	v_fmac_f16_e32 v113, v77, v1
	v_mul_f16_sdwa v77, v60, v6 dst_sel:DWORD dst_unused:UNUSED_PAD src0_sel:DWORD src1_sel:WORD_1
	v_fmac_f16_e32 v115, v78, v2
	v_mul_f16_sdwa v78, v61, v6 dst_sel:DWORD dst_unused:UNUSED_PAD src0_sel:DWORD src1_sel:WORD_1
	v_fmac_f16_e32 v108, v81, v1
	v_mul_f16_sdwa v81, v62, v5 dst_sel:DWORD dst_unused:UNUSED_PAD src0_sel:DWORD src1_sel:WORD_1
	v_fmac_f16_e32 v104, v79, v3
	v_mul_f16_sdwa v79, v93, v5 dst_sel:DWORD dst_unused:UNUSED_PAD src0_sel:DWORD src1_sel:WORD_1
	v_fmac_f16_e32 v114, v80, v0
	v_mul_f16_sdwa v80, v94, v5 dst_sel:DWORD dst_unused:UNUSED_PAD src0_sel:DWORD src1_sel:WORD_1
	v_fmac_f16_e32 v112, v86, v2
	v_mul_f16_sdwa v86, v95, v6 dst_sel:DWORD dst_unused:UNUSED_PAD src0_sel:DWORD src1_sel:WORD_1
	v_fmac_f16_e32 v110, v82, v3
	v_mul_f16_sdwa v82, v96, v6 dst_sel:DWORD dst_unused:UNUSED_PAD src0_sel:DWORD src1_sel:WORD_1
	v_fmac_f16_e32 v98, v83, v0
	v_mul_f16_sdwa v83, v63, v5 dst_sel:DWORD dst_unused:UNUSED_PAD src0_sel:DWORD src1_sel:WORD_1
	v_fmac_f16_e32 v54, v85, v1
	v_mul_f16_sdwa v1, v64, v6 dst_sel:DWORD dst_unused:UNUSED_PAD src0_sel:DWORD src1_sel:WORD_1
	v_fmac_f16_e32 v57, v87, v2
	v_mul_f16_sdwa v2, v65, v6 dst_sel:DWORD dst_unused:UNUSED_PAD src0_sel:DWORD src1_sel:WORD_1
	v_fmac_f16_e32 v70, v88, v0
	v_mul_f16_sdwa v85, v97, v5 dst_sel:DWORD dst_unused:UNUSED_PAD src0_sel:DWORD src1_sel:WORD_1
	v_fmac_f16_e32 v71, v89, v3
	v_mul_f16_sdwa v87, v106, v5 dst_sel:DWORD dst_unused:UNUSED_PAD src0_sel:DWORD src1_sel:WORD_1
	v_fma_f16 v0, v8, v0, -v84
	v_fma_f16 v3, v58, v3, -v72
	v_mul_f16_sdwa v8, v66, v5 dst_sel:DWORD dst_unused:UNUSED_PAD src0_sel:DWORD src1_sel:WORD_1
	v_mul_f16_sdwa v58, v67, v5 dst_sel:DWORD dst_unused:UNUSED_PAD src0_sel:DWORD src1_sel:WORD_1
	;; [unrolled: 1-line block ×4, first 2 shown]
	v_fma_f16 v59, v59, v5, -v73
	v_fma_f16 v60, v60, v6, -v75
	;; [unrolled: 1-line block ×3, first 2 shown]
	v_fmac_f16_e32 v74, v90, v5
	v_fmac_f16_e32 v77, v91, v6
	;; [unrolled: 1-line block ×4, first 2 shown]
	v_fma_f16 v62, v62, v5, -v79
	v_fma_f16 v63, v63, v5, -v80
	;; [unrolled: 1-line block ×6, first 2 shown]
	v_fmac_f16_e32 v83, v94, v5
	v_fmac_f16_e32 v1, v95, v6
	;; [unrolled: 1-line block ×5, first 2 shown]
	v_fma_f16 v5, v29, v6, -v72
	v_fmac_f16_e32 v84, v69, v6
	v_add_f16_e32 v6, v0, v60
	v_sub_f16_e32 v0, v0, v60
	v_add_f16_e32 v29, v70, v77
	v_sub_f16_e32 v60, v70, v77
	;; [unrolled: 2-line block ×7, first 2 shown]
	v_add_f16_e32 v61, v103, v78
	v_add_f16_e32 v77, v105, v81
	;; [unrolled: 1-line block ×3, first 2 shown]
	v_sub_f16_e32 v75, v103, v78
	v_sub_f16_e32 v36, v36, v62
	v_add_f16_e32 v62, v41, v38
	v_add_f16_e32 v78, v107, v109
	v_sub_f16_e32 v38, v38, v41
	v_add_f16_e32 v85, v69, v6
	v_add_f16_e32 v86, v59, v29
	v_sub_f16_e32 v87, v6, v72
	v_sub_f16_e32 v88, v72, v69
	;; [unrolled: 1-line block ×5, first 2 shown]
	v_add_f16_e32 v69, v37, v35
	v_sub_f16_e32 v29, v59, v29
	v_sub_f16_e32 v59, v37, v35
	;; [unrolled: 1-line block ×4, first 2 shown]
	v_add_f16_e32 v95, v77, v61
	v_sub_f16_e32 v79, v105, v81
	v_sub_f16_e32 v41, v109, v107
	v_add_f16_e32 v91, v73, v70
	v_sub_f16_e32 v70, v70, v60
	v_add_f16_e32 v93, v76, v74
	v_sub_f16_e32 v37, v0, v37
	v_sub_f16_e32 v73, v60, v73
	;; [unrolled: 1-line block ×5, first 2 shown]
	v_add_f16_e32 v97, v38, v36
	v_sub_f16_e32 v99, v38, v36
	v_sub_f16_e32 v36, v36, v39
	v_add_f16_e32 v72, v72, v85
	v_add_f16_e32 v55, v55, v86
	;; [unrolled: 1-line block ×4, first 2 shown]
	v_mul_f16_e32 v78, 0x3a52, v87
	v_mul_f16_e32 v85, 0x2b26, v88
	;; [unrolled: 1-line block ×7, first 2 shown]
	v_sub_f16_e32 v94, v74, v62
	v_sub_f16_e32 v74, v76, v74
	;; [unrolled: 1-line block ×3, first 2 shown]
	v_add_f16_e32 v101, v41, v79
	v_sub_f16_e32 v103, v41, v79
	v_sub_f16_e32 v79, v79, v75
	v_add_f16_e32 v60, v91, v60
	v_add_f16_e32 v62, v62, v93
	v_mul_f16_e32 v91, 0x3b00, v70
	v_sub_f16_e32 v38, v39, v38
	v_add_f16_e32 v39, v97, v39
	v_mul_f16_e32 v95, 0xb846, v99
	v_mul_f16_e32 v97, 0x3b00, v36
	v_fmamk_f16 v88, v88, 0x2b26, v78
	v_fma_f16 v85, v6, 0x39e0, -v85
	v_fma_f16 v6, v6, 0xb9e0, -v78
	;; [unrolled: 1-line block ×3, first 2 shown]
	v_fmamk_f16 v59, v37, 0x3574, v59
	v_fma_f16 v37, v37, 0xb574, -v86
	v_fma_f16 v70, v70, 0x3b00, -v87
	v_fmamk_f16 v78, v73, 0x3574, v87
	v_fmamk_f16 v86, v90, 0x2b26, v89
	v_fma_f16 v87, v29, 0x39e0, -v92
	v_fma_f16 v29, v29, 0xb9e0, -v89
	v_add_f16_e32 v89, v72, v31
	v_add_f16_sdwa v31, v55, v31 dst_sel:DWORD dst_unused:UNUSED_PAD src0_sel:DWORD src1_sel:WORD_1
	v_sub_f16_e32 v41, v75, v41
	v_add_f16_e32 v75, v101, v75
	v_mul_f16_e32 v93, 0x3a52, v94
	v_mul_f16_e32 v94, 0x2b26, v76
	;; [unrolled: 1-line block ×6, first 2 shown]
	v_fma_f16 v73, v73, 0xb574, -v91
	v_add_f16_e32 v90, v32, v62
	v_add_f16_sdwa v32, v32, v69 dst_sel:DWORD dst_unused:UNUSED_PAD src0_sel:WORD_1 src1_sel:DWORD
	v_fma_f16 v36, v36, 0x3b00, -v95
	v_fmamk_f16 v92, v38, 0x3574, v95
	v_fma_f16 v38, v38, 0xb574, -v97
	v_fmamk_f16 v72, v72, 0xbcab, v89
	v_fmamk_f16 v55, v55, 0xbcab, v31
	;; [unrolled: 1-line block ×3, first 2 shown]
	v_fma_f16 v91, v74, 0x39e0, -v94
	v_fma_f16 v74, v74, 0xb9e0, -v93
	;; [unrolled: 1-line block ×3, first 2 shown]
	v_fmamk_f16 v93, v41, 0x3574, v99
	v_fma_f16 v41, v41, 0xb574, -v101
	v_fmamk_f16 v77, v77, 0x2b26, v96
	v_fma_f16 v94, v61, 0x39e0, -v103
	v_fma_f16 v61, v61, 0xb9e0, -v96
	v_fmac_f16_e32 v59, 0x370e, v0
	v_fmac_f16_e32 v35, 0x370e, v0
	;; [unrolled: 1-line block ×6, first 2 shown]
	v_fmamk_f16 v0, v62, 0xbcab, v90
	v_fmamk_f16 v60, v69, 0xbcab, v32
	v_fmac_f16_e32 v92, 0x370e, v39
	v_fmac_f16_e32 v36, 0x370e, v39
	;; [unrolled: 1-line block ×3, first 2 shown]
	v_add_f16_e32 v39, v88, v72
	v_add_f16_e32 v62, v85, v72
	;; [unrolled: 1-line block ×6, first 2 shown]
	v_fmac_f16_e32 v93, 0x370e, v75
	v_fmac_f16_e32 v79, 0x370e, v75
	;; [unrolled: 1-line block ×3, first 2 shown]
	v_add_f16_e32 v72, v76, v0
	v_add_f16_e32 v75, v77, v60
	;; [unrolled: 1-line block ×7, first 2 shown]
	v_sub_f16_e32 v77, v62, v70
	v_add_f16_e32 v62, v70, v62
	v_add_f16_e32 v70, v35, v55
	v_sub_f16_e32 v35, v55, v35
	v_add_f16_e32 v55, v73, v6
	v_sub_f16_e32 v6, v6, v73
	v_sub_f16_e32 v73, v29, v37
	v_add_f16_e32 v29, v37, v29
	v_sub_f16_e32 v37, v69, v59
	v_sub_f16_e32 v39, v39, v78
	v_add_f16_e32 v59, v59, v69
	v_add_f16_e32 v69, v93, v72
	v_sub_f16_e32 v78, v76, v79
	v_add_f16_e32 v76, v79, v76
	v_add_f16_e32 v79, v36, v60
	v_sub_f16_e32 v36, v60, v36
	v_add_f16_e32 v60, v41, v0
	v_sub_f16_e32 v0, v0, v41
	v_sub_f16_e32 v41, v61, v38
	v_add_f16_e32 v38, v38, v61
	v_sub_f16_e32 v61, v75, v92
	v_pack_b32_f16 v31, v89, v31
	v_pack_b32_f16 v37, v74, v37
	;; [unrolled: 1-line block ×10, first 2 shown]
	v_add_f16_e32 v80, v40, v64
	v_sub_f16_e32 v40, v40, v64
	v_add_f16_e32 v64, v111, v1
	v_add_f16_e32 v81, v43, v63
	v_sub_f16_e32 v43, v43, v63
	v_add_f16_e32 v63, v113, v83
	v_sub_f16_e32 v82, v113, v83
	v_add_f16_e32 v83, v42, v45
	v_pack_b32_f16 v41, v60, v41
	v_pack_b32_f16 v59, v78, v79
	v_pack_b32_f16 v36, v76, v36
	ds_write2_b32 v68, v31, v37 offset1:4
	ds_write2_b32 v68, v55, v70 offset0:8 offset1:12
	ds_write2_b32 v68, v35, v6 offset0:16 offset1:20
	ds_write_b32 v68, v29 offset:96
	ds_write2_b32 v30, v32, v39 offset1:4
	ds_write2_b32 v30, v41, v59 offset0:8 offset1:12
	ds_write2_b32 v30, v36, v0 offset0:16 offset1:20
	v_sub_f16_e32 v0, v45, v42
	v_add_f16_e32 v6, v115, v104
	v_sub_f16_e32 v31, v104, v115
	v_sub_f16_e32 v35, v80, v83
	;; [unrolled: 1-line block ×3, first 2 shown]
	v_add_f16_e32 v37, v63, v64
	v_add_f16_e32 v42, v0, v43
	v_sub_f16_e32 v1, v111, v1
	v_add_f16_e32 v29, v81, v80
	v_sub_f16_e32 v32, v81, v80
	v_sub_f16_e32 v39, v64, v6
	;; [unrolled: 1-line block ×3, first 2 shown]
	v_add_f16_e32 v6, v6, v37
	v_sub_f16_e32 v37, v0, v43
	v_sub_f16_e32 v0, v40, v0
	;; [unrolled: 1-line block ×3, first 2 shown]
	v_add_f16_e32 v40, v42, v40
	v_add_f16_e32 v42, v31, v82
	v_mul_f16_e32 v35, 0x3a52, v35
	v_mul_f16_e32 v59, 0x2b26, v36
	v_add_f16_e32 v29, v83, v29
	v_sub_f16_e32 v38, v63, v64
	v_sub_f16_e32 v45, v31, v82
	;; [unrolled: 1-line block ×4, first 2 shown]
	v_add_f16_e32 v1, v42, v1
	v_fmamk_f16 v36, v36, 0x2b26, v35
	v_mul_f16_e32 v39, 0x3a52, v39
	v_mul_f16_e32 v42, 0x2b26, v41
	v_fma_f16 v59, v32, 0x39e0, -v59
	v_fma_f16 v32, v32, 0xb9e0, -v35
	v_mul_f16_e32 v35, 0xb846, v37
	v_fmamk_f16 v37, v41, 0x2b26, v39
	v_fma_f16 v41, v38, 0x39e0, -v42
	v_fma_f16 v38, v38, 0xb9e0, -v39
	v_mul_f16_e32 v39, 0x3b00, v43
	v_fma_f16 v42, v43, 0x3b00, -v35
	v_add_f16_e32 v43, v33, v29
	v_mul_f16_e32 v45, 0xb846, v45
	v_add_f16_sdwa v33, v33, v6 dst_sel:DWORD dst_unused:UNUSED_PAD src0_sel:WORD_1 src1_sel:DWORD
	v_fmamk_f16 v35, v0, 0x3574, v35
	v_fma_f16 v0, v0, 0xb574, -v39
	v_mul_f16_e32 v39, 0x3b00, v55
	v_fmamk_f16 v29, v29, 0xbcab, v43
	v_fma_f16 v55, v55, 0x3b00, -v45
	v_fmamk_f16 v6, v6, 0xbcab, v33
	v_fmamk_f16 v45, v31, 0x3574, v45
	v_fma_f16 v31, v31, 0xb574, -v39
	v_add_f16_e32 v36, v36, v29
	v_add_f16_e32 v39, v59, v29
	;; [unrolled: 1-line block ×5, first 2 shown]
	v_fmac_f16_e32 v35, 0x370e, v40
	v_fmac_f16_e32 v55, 0x370e, v1
	;; [unrolled: 1-line block ×3, first 2 shown]
	v_add_f16_e32 v6, v38, v6
	v_fmac_f16_e32 v0, 0x370e, v40
	v_fmac_f16_e32 v45, 0x370e, v1
	;; [unrolled: 1-line block ×3, first 2 shown]
	v_sub_f16_e32 v1, v39, v55
	v_add_f16_e32 v38, v55, v39
	v_add_f16_e32 v39, v42, v37
	v_sub_f16_e32 v37, v37, v42
	v_sub_f16_e32 v41, v32, v35
	v_add_f16_e32 v32, v35, v32
	v_add_f16_e32 v35, v47, v65
	v_sub_f16_e32 v42, v47, v65
	v_add_f16_e32 v47, v44, v66
	v_add_f16_e32 v40, v31, v29
	v_sub_f16_e32 v29, v29, v31
	v_sub_f16_e32 v31, v6, v0
	v_add_f16_e32 v0, v0, v6
	v_add_f16_e32 v6, v45, v36
	v_sub_f16_e32 v36, v36, v45
	v_add_f16_e32 v45, v114, v2
	v_sub_f16_e32 v44, v44, v66
	v_add_f16_e32 v55, v108, v8
	v_add_f16_e32 v59, v56, v46
	v_sub_f16_e32 v46, v46, v56
	v_add_f16_e32 v56, v112, v110
	v_add_f16_e32 v60, v47, v35
	v_sub_f16_e32 v2, v114, v2
	v_sub_f16_e32 v8, v108, v8
	;; [unrolled: 1-line block ×6, first 2 shown]
	v_add_f16_e32 v59, v59, v60
	v_add_f16_e32 v60, v55, v45
	v_sub_f16_e32 v63, v55, v45
	v_sub_f16_e32 v45, v45, v56
	v_sub_f16_e32 v55, v56, v55
	v_add_f16_e32 v64, v46, v44
	v_add_f16_e32 v56, v56, v60
	v_sub_f16_e32 v60, v46, v44
	v_sub_f16_e32 v46, v42, v46
	;; [unrolled: 1-line block ×3, first 2 shown]
	v_add_f16_e32 v42, v64, v42
	v_add_f16_e32 v64, v61, v8
	v_sub_f16_e32 v65, v61, v8
	v_sub_f16_e32 v8, v8, v2
	v_mul_f16_e32 v35, 0x3a52, v35
	v_mul_f16_e32 v66, 0x2b26, v47
	;; [unrolled: 1-line block ×4, first 2 shown]
	v_sub_f16_e32 v61, v2, v61
	v_add_f16_e32 v2, v64, v2
	v_add_f16_e32 v64, v34, v59
	v_add_f16_sdwa v34, v34, v56 dst_sel:DWORD dst_unused:UNUSED_PAD src0_sel:WORD_1 src1_sel:DWORD
	v_fmamk_f16 v47, v47, 0x2b26, v35
	v_fma_f16 v66, v62, 0x39e0, -v66
	v_fma_f16 v35, v62, 0xb9e0, -v35
	v_mul_f16_e32 v60, 0xb846, v60
	v_fmamk_f16 v55, v55, 0x2b26, v45
	v_fma_f16 v62, v63, 0x39e0, -v68
	v_mul_f16_e32 v68, 0x3b00, v44
	v_fma_f16 v45, v63, 0xb9e0, -v45
	v_mul_f16_e32 v63, 0xb846, v65
	v_mul_f16_e32 v65, 0x3b00, v8
	v_fma_f16 v44, v44, 0x3b00, -v60
	v_fmamk_f16 v60, v46, 0x3574, v60
	v_fma_f16 v46, v46, 0xb574, -v68
	v_fmamk_f16 v59, v59, 0xbcab, v64
	;; [unrolled: 2-line block ×3, first 2 shown]
	v_fmamk_f16 v56, v56, 0xbcab, v34
	v_fma_f16 v61, v61, 0xb574, -v65
	v_add_f16_e32 v47, v47, v59
	v_add_f16_e32 v65, v66, v59
	v_add_f16_e32 v35, v35, v59
	v_add_f16_e32 v55, v55, v56
	v_add_f16_e32 v59, v62, v56
	v_add_f16_e32 v45, v45, v56
	v_fmac_f16_e32 v60, 0x370e, v42
	v_fmac_f16_e32 v44, 0x370e, v42
	;; [unrolled: 1-line block ×6, first 2 shown]
	v_add_f16_e32 v42, v44, v59
	v_sub_f16_e32 v44, v59, v44
	v_sub_f16_e32 v59, v45, v46
	v_add_f16_e32 v56, v61, v35
	v_sub_f16_e32 v35, v35, v61
	v_add_f16_e32 v45, v46, v45
	v_add_f16_e32 v46, v63, v47
	v_sub_f16_e32 v47, v47, v63
	v_sub_f16_e32 v61, v55, v60
	v_add_f16_e32 v60, v60, v55
	v_add_f16_e32 v55, v48, v5
	;; [unrolled: 1-line block ×3, first 2 shown]
	v_sub_f16_e32 v2, v65, v8
	v_add_f16_e32 v8, v8, v65
	v_sub_f16_e32 v5, v48, v5
	v_add_f16_e32 v48, v98, v84
	v_sub_f16_e32 v65, v100, v67
	v_add_f16_e32 v66, v54, v58
	v_sub_f16_e32 v54, v54, v58
	v_add_f16_e32 v58, v102, v3
	v_sub_f16_e32 v3, v3, v102
	v_add_f16_e32 v67, v57, v71
	v_add_f16_e32 v68, v63, v55
	v_sub_f16_e32 v57, v71, v57
	v_sub_f16_e32 v69, v63, v55
	v_sub_f16_e32 v55, v55, v58
	v_sub_f16_e32 v63, v58, v63
	v_add_f16_e32 v58, v58, v68
	v_add_f16_e32 v68, v66, v48
	v_sub_f16_e32 v70, v66, v48
	v_sub_f16_e32 v48, v48, v67
	;; [unrolled: 1-line block ×3, first 2 shown]
	v_add_f16_e32 v71, v3, v65
	v_sub_f16_e32 v62, v98, v84
	v_add_f16_e32 v67, v67, v68
	v_sub_f16_e32 v68, v3, v65
	v_sub_f16_e32 v3, v5, v3
	;; [unrolled: 1-line block ×3, first 2 shown]
	v_add_f16_e32 v5, v71, v5
	v_add_f16_e32 v71, v57, v54
	v_sub_f16_e32 v73, v57, v54
	v_mul_f16_e32 v55, 0x3a52, v55
	v_mul_f16_e32 v74, 0x2b26, v63
	;; [unrolled: 1-line block ×4, first 2 shown]
	v_sub_f16_e32 v57, v62, v57
	v_sub_f16_e32 v54, v54, v62
	v_add_f16_e32 v62, v71, v62
	v_add_f16_e32 v71, v7, v58
	v_fmamk_f16 v63, v63, 0x2b26, v55
	v_fma_f16 v74, v69, 0x39e0, -v74
	v_fma_f16 v55, v69, 0xb9e0, -v55
	v_fmamk_f16 v66, v66, 0x2b26, v48
	v_fma_f16 v69, v70, 0x39e0, -v76
	v_fma_f16 v48, v70, 0xb9e0, -v48
	v_mul_f16_e32 v70, 0xb846, v73
	v_mul_f16_e32 v68, 0xb846, v68
	;; [unrolled: 1-line block ×4, first 2 shown]
	v_fmamk_f16 v58, v58, 0xbcab, v71
	v_fma_f16 v54, v54, 0x3b00, -v70
	v_add_f16_sdwa v7, v7, v67 dst_sel:DWORD dst_unused:UNUSED_PAD src0_sel:WORD_1 src1_sel:DWORD
	v_fma_f16 v65, v65, 0x3b00, -v68
	v_fmamk_f16 v68, v3, 0x3574, v68
	v_fma_f16 v3, v3, 0xb574, -v76
	v_fmamk_f16 v70, v57, 0x3574, v70
	v_fma_f16 v57, v57, 0xb574, -v73
	v_add_f16_e32 v73, v74, v58
	v_fmac_f16_e32 v54, 0x370e, v62
	v_fmamk_f16 v67, v67, 0xbcab, v7
	v_fmac_f16_e32 v68, 0x370e, v5
	v_fmac_f16_e32 v65, 0x370e, v5
	;; [unrolled: 1-line block ×5, first 2 shown]
	v_sub_f16_e32 v5, v73, v54
	v_add_f16_e32 v62, v54, v73
	v_lshrrev_b32_e32 v54, 2, v17
	v_add_f16_e32 v63, v63, v58
	v_add_f16_e32 v55, v55, v58
	;; [unrolled: 1-line block ×5, first 2 shown]
	v_mul_u32_u24_e32 v73, 28, v54
	v_sub_f16_e32 v72, v72, v93
	v_add_f16_e32 v75, v92, v75
	v_add_f16_e32 v67, v65, v66
	v_sub_f16_e32 v65, v66, v65
	v_add_f16_e32 v66, v57, v55
	v_sub_f16_e32 v57, v55, v57
	v_sub_f16_e32 v69, v48, v3
	v_add_f16_e32 v3, v3, v48
	v_add_f16_e32 v48, v70, v63
	v_sub_f16_e32 v54, v63, v70
	v_sub_f16_e32 v63, v58, v68
	v_add_f16_e32 v55, v68, v58
	v_or_b32_e32 v68, v73, v14
	v_pack_b32_f16 v58, v72, v75
	v_pack_b32_f16 v33, v43, v33
	v_lshrrev_b32_e32 v43, 2, v49
	v_pack_b32_f16 v31, v40, v31
	v_lshl_add_u32 v40, v68, 2, 0
	v_pack_b32_f16 v1, v1, v39
	v_pack_b32_f16 v6, v6, v41
	;; [unrolled: 1-line block ×4, first 2 shown]
	v_mul_u32_u24_e32 v39, 28, v43
	ds_write_b32 v30, v58 offset:96
	ds_write2_b32 v40, v33, v6 offset1:4
	ds_write2_b32 v40, v31, v1 offset0:8 offset1:12
	ds_write2_b32 v40, v37, v0 offset0:16 offset1:20
	v_lshrrev_b32_e32 v1, 2, v50
	v_or_b32_e32 v6, v39, v14
	v_pack_b32_f16 v0, v36, v32
	v_pack_b32_f16 v29, v64, v34
	v_pack_b32_f16 v30, v46, v61
	v_mul_u32_u24_e32 v1, 28, v1
	v_lshl_add_u32 v6, v6, 2, 0
	ds_write_b32 v40, v0 offset:96
	v_pack_b32_f16 v31, v56, v59
	v_pack_b32_f16 v2, v2, v42
	v_or_b32_e32 v0, v1, v14
	v_pack_b32_f16 v8, v8, v44
	v_pack_b32_f16 v32, v35, v45
	;; [unrolled: 1-line block ×3, first 2 shown]
	ds_write2_b32 v6, v29, v30 offset1:4
	ds_write2_b32 v6, v31, v2 offset0:8 offset1:12
	ds_write2_b32 v6, v8, v32 offset0:16 offset1:20
	v_lshl_add_u32 v0, v0, 2, 0
	v_pack_b32_f16 v2, v71, v7
	v_pack_b32_f16 v7, v48, v63
	;; [unrolled: 1-line block ×7, first 2 shown]
	ds_write_b32 v6, v1 offset:96
	ds_write2_b32 v0, v2, v7 offset1:4
	ds_write2_b32 v0, v8, v5 offset0:8 offset1:12
	ds_write2_b32 v0, v14, v3 offset0:16 offset1:20
	ds_write_b32 v0, v29 offset:96
	s_waitcnt lgkmcnt(0)
	s_barrier
	buffer_gl0_inv
	ds_read2_b32 v[29:30], v51 offset1:56
	ds_read_u16 v58, v51 offset:3922
	ds_read2_b32 v[0:1], v13 offset0:128 offset1:212
	ds_read2_b32 v[41:42], v12 offset0:12 offset1:68
	;; [unrolled: 1-line block ×5, first 2 shown]
	v_add_nc_u32_e32 v12, 0x1600, v51
	ds_read2_b32 v[47:48], v10 offset0:108 offset1:164
	ds_read2_b32 v[5:6], v9 offset0:80 offset1:136
	;; [unrolled: 1-line block ×11, first 2 shown]
	s_and_saveexec_b32 s1, s0
	s_cbranch_execz .LBB0_25
; %bb.24:
	ds_read_b32 v54, v51 offset:3808
	ds_read_b32 v15, v51 offset:7728
	s_waitcnt lgkmcnt(1)
	v_lshrrev_b32_e32 v55, 16, v54
	s_waitcnt lgkmcnt(0)
	v_lshrrev_b32_e32 v52, 16, v15
.LBB0_25:
	s_or_b32 exec_lo, exec_lo, s1
	v_mov_b32_e32 v57, 0x4925
	v_lshrrev_b16 v69, 2, v25
	v_add_nc_u16 v70, v16, 0x1f8
	v_lshrrev_b16 v73, 2, v26
	v_add_nc_u16 v75, v16, 0x230
	v_add_nc_u16 v76, v16, 0x268
	v_mul_u32_u24_sdwa v69, v69, v57 dst_sel:DWORD dst_unused:UNUSED_PAD src0_sel:WORD_0 src1_sel:DWORD
	v_lshrrev_b16 v74, 2, v70
	v_mul_u32_u24_sdwa v73, v73, v57 dst_sel:DWORD dst_unused:UNUSED_PAD src0_sel:WORD_0 src1_sel:DWORD
	v_lshrrev_b16 v78, 2, v75
	v_lshrrev_b16 v79, 2, v76
	v_lshrrev_b32_e32 v69, 17, v69
	v_mul_u32_u24_sdwa v74, v74, v57 dst_sel:DWORD dst_unused:UNUSED_PAD src0_sel:WORD_0 src1_sel:DWORD
	v_lshrrev_b32_e32 v73, 17, v73
	v_lshrrev_b16 v21, 2, v23
	v_lshrrev_b16 v28, 2, v17
	v_mul_lo_u16 v77, v69, 28
	v_lshrrev_b32_e32 v74, 17, v74
	v_mov_b32_e32 v56, 2
	v_mul_u32_u24_sdwa v78, v78, v57 dst_sel:DWORD dst_unused:UNUSED_PAD src0_sel:WORD_0 src1_sel:DWORD
	v_mul_u32_u24_sdwa v79, v79, v57 dst_sel:DWORD dst_unused:UNUSED_PAD src0_sel:WORD_0 src1_sel:DWORD
	v_sub_nc_u16 v25, v25, v77
	v_mul_lo_u16 v77, v73, 28
	v_mul_lo_u16 v80, v74, 28
	v_and_b32_e32 v21, 63, v21
	v_and_b32_e32 v28, 63, v28
	v_lshlrev_b32_sdwa v81, v56, v25 dst_sel:DWORD dst_unused:UNUSED_PAD src0_sel:DWORD src1_sel:WORD_0
	v_sub_nc_u16 v25, v26, v77
	v_sub_nc_u16 v26, v70, v80
	v_lshrrev_b32_e32 v70, 17, v78
	v_lshrrev_b32_e32 v77, 17, v79
	v_add_nc_u16 v78, v16, 0x2a0
	v_mul_lo_u16 v21, v21, 37
	v_subrev_nc_u32_e32 v27, 28, v16
	v_mul_lo_u16 v28, v28, 37
	v_lshlrev_b32_sdwa v79, v56, v25 dst_sel:DWORD dst_unused:UNUSED_PAD src0_sel:DWORD src1_sel:WORD_0
	v_lshlrev_b32_sdwa v80, v56, v26 dst_sel:DWORD dst_unused:UNUSED_PAD src0_sel:DWORD src1_sel:WORD_0
	v_mul_lo_u16 v25, v70, 28
	v_mul_lo_u16 v26, v77, 28
	v_add_nc_u16 v83, v16, 0x2d8
	v_lshrrev_b16 v82, 2, v78
	v_add_nc_u16 v84, v16, 0x310
	v_lshrrev_b16 v62, 8, v21
	v_mov_b32_e32 v22, 0
	v_cndmask_b32_e64 v21, v27, v16, s0
	v_lshrrev_b16 v64, 8, v28
	v_lshrrev_b16 v59, 2, v49
	;; [unrolled: 1-line block ×5, first 2 shown]
	v_sub_nc_u16 v25, v75, v25
	v_sub_nc_u16 v26, v76, v26
	v_lshrrev_b16 v76, 2, v83
	v_mul_u32_u24_sdwa v75, v82, v57 dst_sel:DWORD dst_unused:UNUSED_PAD src0_sel:WORD_0 src1_sel:DWORD
	v_lshrrev_b16 v82, 2, v84
	v_mul_lo_u16 v65, v62, 28
	v_lshlrev_b64 v[27:28], 2, v[21:22]
	v_mul_lo_u16 v66, v64, 28
	v_and_b32_e32 v59, 63, v59
	v_mul_u32_u24_sdwa v61, v61, v57 dst_sel:DWORD dst_unused:UNUSED_PAD src0_sel:WORD_0 src1_sel:DWORD
	v_mul_u32_u24_sdwa v63, v63, v57 dst_sel:DWORD dst_unused:UNUSED_PAD src0_sel:WORD_0 src1_sel:DWORD
	;; [unrolled: 1-line block ×3, first 2 shown]
	v_lshlrev_b32_sdwa v85, v56, v25 dst_sel:DWORD dst_unused:UNUSED_PAD src0_sel:DWORD src1_sel:WORD_0
	v_mul_u32_u24_sdwa v25, v76, v57 dst_sel:DWORD dst_unused:UNUSED_PAD src0_sel:WORD_0 src1_sel:DWORD
	v_add_nc_u16 v76, v16, 0x348
	v_lshlrev_b32_sdwa v86, v56, v26 dst_sel:DWORD dst_unused:UNUSED_PAD src0_sel:DWORD src1_sel:WORD_0
	v_mul_u32_u24_sdwa v26, v82, v57 dst_sel:DWORD dst_unused:UNUSED_PAD src0_sel:WORD_0 src1_sel:DWORD
	v_sub_nc_u16 v65, v23, v65
	v_sub_nc_u16 v66, v17, v66
	v_mul_lo_u16 v59, v59, 37
	v_add_co_u32 v27, s1, s8, v27
	v_lshrrev_b32_e32 v61, 17, v61
	v_lshrrev_b32_e32 v63, 17, v63
	;; [unrolled: 1-line block ×4, first 2 shown]
	v_lshrrev_b16 v25, 2, v76
	v_add_co_ci_u32_e64 v28, s1, s9, v28, s1
	v_lshrrev_b32_e32 v75, 17, v75
	v_lshrrev_b32_e32 v95, 17, v26
	v_lshrrev_b16 v26, 2, v4
	v_lshlrev_b32_sdwa v65, v56, v65 dst_sel:DWORD dst_unused:UNUSED_PAD src0_sel:DWORD src1_sel:BYTE_0
	v_lshlrev_b32_sdwa v66, v56, v66 dst_sel:DWORD dst_unused:UNUSED_PAD src0_sel:DWORD src1_sel:BYTE_0
	v_lshrrev_b16 v59, 8, v59
	v_mul_lo_u16 v71, v61, 28
	v_mul_lo_u16 v72, v63, 28
	;; [unrolled: 1-line block ×3, first 2 shown]
	v_mul_u32_u24_sdwa v25, v25, v57 dst_sel:DWORD dst_unused:UNUSED_PAD src0_sel:WORD_0 src1_sel:DWORD
	s_clause 0x7
	global_load_dword v82, v[27:28], off offset:96
	global_load_dword v87, v65, s[8:9] offset:96
	global_load_dword v88, v66, s[8:9] offset:96
	;; [unrolled: 1-line block ×7, first 2 shown]
	v_mul_lo_u16 v27, v75, 28
	v_mul_u32_u24_sdwa v26, v26, v57 dst_sel:DWORD dst_unused:UNUSED_PAD src0_sel:WORD_0 src1_sel:DWORD
	v_mul_lo_u16 v67, v59, 28
	v_sub_nc_u16 v71, v24, v71
	v_sub_nc_u16 v72, v53, v72
	;; [unrolled: 1-line block ×3, first 2 shown]
	v_lshrrev_b32_e32 v99, 17, v25
	v_sub_nc_u16 v25, v78, v27
	v_lshrrev_b32_e32 v78, 17, v26
	v_mul_lo_u16 v26, v94, 28
	v_sub_nc_u16 v67, v49, v67
	v_lshlrev_b32_sdwa v72, v56, v72 dst_sel:DWORD dst_unused:UNUSED_PAD src0_sel:DWORD src1_sel:WORD_0
	v_lshlrev_b32_sdwa v71, v56, v71 dst_sel:DWORD dst_unused:UNUSED_PAD src0_sel:DWORD src1_sel:WORD_0
	v_mul_lo_u16 v27, v95, 28
	v_lshlrev_b32_sdwa v68, v56, v68 dst_sel:DWORD dst_unused:UNUSED_PAD src0_sel:DWORD src1_sel:WORD_0
	v_mul_lo_u16 v28, v99, 28
	v_mul_lo_u16 v100, v78, 28
	v_sub_nc_u16 v26, v83, v26
	s_clause 0x2
	global_load_dword v96, v72, s[8:9] offset:96
	global_load_dword v97, v71, s[8:9] offset:96
	;; [unrolled: 1-line block ×3, first 2 shown]
	v_lshlrev_b32_sdwa v67, v56, v67 dst_sel:DWORD dst_unused:UNUSED_PAD src0_sel:DWORD src1_sel:BYTE_0
	v_sub_nc_u16 v27, v84, v27
	v_sub_nc_u16 v28, v76, v28
	;; [unrolled: 1-line block ×3, first 2 shown]
	v_lshlrev_b32_sdwa v83, v56, v25 dst_sel:DWORD dst_unused:UNUSED_PAD src0_sel:DWORD src1_sel:WORD_0
	v_lshlrev_b32_sdwa v84, v56, v26 dst_sel:DWORD dst_unused:UNUSED_PAD src0_sel:DWORD src1_sel:WORD_0
	global_load_dword v76, v67, s[8:9] offset:96
	v_lshlrev_b32_sdwa v100, v56, v27 dst_sel:DWORD dst_unused:UNUSED_PAD src0_sel:DWORD src1_sel:WORD_0
	v_lshlrev_b32_sdwa v101, v56, v28 dst_sel:DWORD dst_unused:UNUSED_PAD src0_sel:DWORD src1_sel:WORD_0
	;; [unrolled: 1-line block ×3, first 2 shown]
	s_clause 0x4
	global_load_dword v102, v83, s[8:9] offset:96
	global_load_dword v103, v84, s[8:9] offset:96
	;; [unrolled: 1-line block ×5, first 2 shown]
	v_lshlrev_b32_e32 v28, 2, v23
	v_lshlrev_b32_e32 v23, 2, v53
	v_mov_b32_e32 v53, 0xe0
	v_mul_u32_u24_e32 v61, 0xe0, v61
	v_mul_u32_u24_e32 v70, 0xe0, v70
	;; [unrolled: 1-line block ×3, first 2 shown]
	s_waitcnt lgkmcnt(17)
	v_lshrrev_b32_e32 v108, 16, v29
	v_mul_u32_u24_sdwa v62, v62, v53 dst_sel:DWORD dst_unused:UNUSED_PAD src0_sel:WORD_0 src1_sel:DWORD
	v_add3_u32 v61, 0, v61, v71
	v_mul_u32_u24_sdwa v64, v64, v53 dst_sel:DWORD dst_unused:UNUSED_PAD src0_sel:WORD_0 src1_sel:DWORD
	v_mul_u32_u24_sdwa v53, v59, v53 dst_sel:DWORD dst_unused:UNUSED_PAD src0_sel:WORD_0 src1_sel:DWORD
	s_waitcnt lgkmcnt(14)
	v_lshrrev_b32_e32 v111, 16, v41
	v_add3_u32 v62, 0, v62, v65
	v_add3_u32 v65, 0, v70, v85
	v_mul_u32_u24_e32 v63, 0xe0, v63
	v_mul_u32_u24_e32 v78, 0xe0, v78
	;; [unrolled: 1-line block ×5, first 2 shown]
	v_lshrrev_b32_e32 v112, 16, v42
	v_mul_u32_u24_e32 v60, 0xe0, v60
	v_mul_u32_u24_e32 v69, 0xe0, v69
	;; [unrolled: 1-line block ×3, first 2 shown]
	v_add3_u32 v53, 0, v53, v67
	v_add3_u32 v67, 0, v75, v83
	v_cmp_lt_u32_e64 s1, 27, v16
	v_mul_u32_u24_e32 v94, 0xe0, v95
	v_mul_u32_u24_e32 v95, 0xe0, v99
	v_add3_u32 v63, 0, v63, v72
	v_add3_u32 v4, 0, v78, v4
	;; [unrolled: 1-line block ×7, first 2 shown]
	v_cndmask_b32_e64 v107, 0, 0xe0, s1
	v_lshlrev_b32_e32 v21, 2, v21
	v_lshrrev_b32_e32 v109, 16, v30
	v_add3_u32 v64, 0, v64, v66
	v_add3_u32 v66, 0, v74, v86
	;; [unrolled: 1-line block ×4, first 2 shown]
	s_waitcnt lgkmcnt(13)
	v_lshrrev_b32_e32 v110, 16, v2
	v_add3_u32 v21, 0, v107, v21
	s_waitcnt vmcnt(0) lgkmcnt(0)
	s_barrier
	buffer_gl0_inv
	v_lshlrev_b32_e32 v27, 2, v17
	v_lshlrev_b32_e32 v26, 2, v49
	v_lshlrev_b32_e32 v25, 2, v50
	v_lshlrev_b32_e32 v24, 2, v24
	v_mul_f16_sdwa v70, v58, v82 dst_sel:DWORD dst_unused:UNUSED_PAD src0_sel:DWORD src1_sel:WORD_1
	v_mul_f16_sdwa v71, v82, v1 dst_sel:DWORD dst_unused:UNUSED_PAD src0_sel:WORD_1 src1_sel:DWORD
	v_mul_f16_sdwa v77, v87, v111 dst_sel:DWORD dst_unused:UNUSED_PAD src0_sel:WORD_1 src1_sel:DWORD
	;; [unrolled: 1-line block ×4, first 2 shown]
	v_fma_f16 v1, v82, v1, -v70
	v_fmac_f16_e32 v71, v58, v82
	v_mul_f16_sdwa v80, v88, v42 dst_sel:DWORD dst_unused:UNUSED_PAD src0_sel:WORD_1 src1_sel:DWORD
	v_pk_mul_f16 v82, v45, v89 op_sel:[0,1]
	v_pk_mul_f16 v83, v46, v90 op_sel:[0,1]
	v_sub_f16_e32 v1, v29, v1
	v_sub_f16_e32 v71, v108, v71
	v_pk_mul_f16 v84, v43, v91 op_sel:[0,1]
	v_pk_mul_f16 v85, v44, v92 op_sel:[0,1]
	;; [unrolled: 1-line block ×3, first 2 shown]
	v_fma_f16 v29, v29, 2.0, -v1
	v_fma_f16 v99, v108, 2.0, -v71
	v_fmac_f16_e32 v78, v87, v111
	v_fma_f16 v41, v87, v41, -v77
	v_fma_f16 v42, v88, v42, -v79
	v_fmac_f16_e32 v80, v88, v112
	v_pack_b32_f16 v1, v1, v71
	v_pk_fma_f16 v71, v46, v90, v83 op_sel:[0,0,1] op_sel_hi:[1,1,0] neg_lo:[0,0,1] neg_hi:[0,0,1]
	v_pk_fma_f16 v46, v46, v90, v83 op_sel:[0,0,1] op_sel_hi:[1,0,0]
	v_pk_fma_f16 v77, v39, v93, v86 op_sel:[0,0,1] op_sel_hi:[1,1,0] neg_lo:[0,0,1] neg_hi:[0,0,1]
	v_pk_fma_f16 v39, v39, v93, v86 op_sel:[0,0,1] op_sel_hi:[1,0,0]
	v_pk_mul_f16 v58, v96, v48 op_sel:[0,1]
	v_pk_mul_f16 v70, v97, v47 op_sel:[0,1]
	;; [unrolled: 1-line block ×3, first 2 shown]
	v_pack_b32_f16 v29, v29, v99
	v_sub_f16_e32 v41, v30, v41
	v_pk_fma_f16 v81, v96, v48, v58 op_sel:[0,0,1] op_sel_hi:[1,1,0] neg_lo:[0,0,1] neg_hi:[0,0,1]
	v_pk_fma_f16 v48, v96, v48, v58 op_sel:[0,0,1] op_sel_hi:[1,0,0]
	v_pk_fma_f16 v58, v97, v47, v70 op_sel:[0,0,1] op_sel_hi:[1,1,0] neg_lo:[0,0,1] neg_hi:[0,0,1]
	v_pk_fma_f16 v47, v97, v47, v70 op_sel:[0,0,1] op_sel_hi:[1,0,0]
	;; [unrolled: 2-line block ×3, first 2 shown]
	v_pk_mul_f16 v75, v76, v37 op_sel:[0,1]
	v_pk_mul_f16 v94, v40, v102 op_sel:[0,1]
	;; [unrolled: 1-line block ×6, first 2 shown]
	v_bfi_b32 v47, 0xffff, v58, v47
	v_pk_fma_f16 v58, v76, v37, v75 op_sel:[0,0,1] op_sel_hi:[1,1,0] neg_lo:[0,0,1] neg_hi:[0,0,1]
	v_pk_fma_f16 v37, v76, v37, v75 op_sel:[0,0,1] op_sel_hi:[1,0,0]
	v_bfi_b32 v48, 0xffff, v81, v48
	v_bfi_b32 v38, 0xffff, v70, v38
	v_pk_fma_f16 v70, v45, v89, v82 op_sel:[0,0,1] op_sel_hi:[1,1,0] neg_lo:[0,0,1] neg_hi:[0,0,1]
	v_pk_fma_f16 v45, v45, v89, v82 op_sel:[0,0,1] op_sel_hi:[1,0,0]
	v_pk_fma_f16 v75, v43, v91, v84 op_sel:[0,0,1] op_sel_hi:[1,1,0] neg_lo:[0,0,1] neg_hi:[0,0,1]
	v_pk_fma_f16 v43, v43, v91, v84 op_sel:[0,0,1] op_sel_hi:[1,0,0]
	;; [unrolled: 2-line block ×8, first 2 shown]
	v_sub_f16_e32 v78, v109, v78
	v_sub_f16_e32 v42, v2, v42
	;; [unrolled: 1-line block ×3, first 2 shown]
	v_pk_add_f16 v47, v32, v47 neg_lo:[0,1] neg_hi:[0,1]
	v_bfi_b32 v37, 0xffff, v58, v37
	v_bfi_b32 v45, 0xffff, v70, v45
	;; [unrolled: 1-line block ×11, first 2 shown]
	ds_write2_b32 v21, v29, v1 offset1:28
	v_fma_f16 v1, v30, 2.0, -v41
	v_fma_f16 v21, v109, 2.0, -v78
	;; [unrolled: 1-line block ×4, first 2 shown]
	v_pk_fma_f16 v30, v32, 2.0, v47 op_sel_hi:[1,0,1] neg_lo:[0,0,1] neg_hi:[0,0,1]
	v_pk_add_f16 v32, v3, v37 neg_lo:[0,1] neg_hi:[0,1]
	v_pk_add_f16 v38, v31, v38 neg_lo:[0,1] neg_hi:[0,1]
	;; [unrolled: 1-line block ×3, first 2 shown]
	v_pack_b32_f16 v37, v41, v78
	v_pack_b32_f16 v41, v42, v80
	v_pk_add_f16 v42, v6, v45 neg_lo:[0,1] neg_hi:[0,1]
	v_pk_add_f16 v45, v7, v46 neg_lo:[0,1] neg_hi:[0,1]
	;; [unrolled: 1-line block ×10, first 2 shown]
	v_pack_b32_f16 v1, v1, v21
	v_pack_b32_f16 v2, v2, v29
	v_pk_fma_f16 v3, v3, 2.0, v32 op_sel_hi:[1,0,1] neg_lo:[0,0,1] neg_hi:[0,0,1]
	v_pk_fma_f16 v31, v31, 2.0, v38 op_sel_hi:[1,0,1] neg_lo:[0,0,1] neg_hi:[0,0,1]
	v_pk_fma_f16 v5, v5, 2.0, v48 op_sel_hi:[1,0,1] neg_lo:[0,0,1] neg_hi:[0,0,1]
	v_pk_fma_f16 v6, v6, 2.0, v42 op_sel_hi:[1,0,1] neg_lo:[0,0,1] neg_hi:[0,0,1]
	v_pk_fma_f16 v7, v7, 2.0, v45 op_sel_hi:[1,0,1] neg_lo:[0,0,1] neg_hi:[0,0,1]
	v_pk_fma_f16 v8, v8, 2.0, v43 op_sel_hi:[1,0,1] neg_lo:[0,0,1] neg_hi:[0,0,1]
	v_pk_fma_f16 v9, v9, 2.0, v44 op_sel_hi:[1,0,1] neg_lo:[0,0,1] neg_hi:[0,0,1]
	v_pk_fma_f16 v10, v10, 2.0, v39 op_sel_hi:[1,0,1] neg_lo:[0,0,1] neg_hi:[0,0,1]
	v_pk_fma_f16 v11, v11, 2.0, v40 op_sel_hi:[1,0,1] neg_lo:[0,0,1] neg_hi:[0,0,1]
	v_pk_fma_f16 v12, v12, 2.0, v35 op_sel_hi:[1,0,1] neg_lo:[0,0,1] neg_hi:[0,0,1]
	v_pk_fma_f16 v13, v13, 2.0, v36 op_sel_hi:[1,0,1] neg_lo:[0,0,1] neg_hi:[0,0,1]
	v_pk_fma_f16 v14, v14, 2.0, v33 op_sel_hi:[1,0,1] neg_lo:[0,0,1] neg_hi:[0,0,1]
	v_pk_fma_f16 v0, v0, 2.0, v34 op_sel_hi:[1,0,1] neg_lo:[0,0,1] neg_hi:[0,0,1]
	ds_write2_b32 v62, v1, v37 offset1:28
	ds_write2_b32 v64, v2, v41 offset1:28
	;; [unrolled: 1-line block ×16, first 2 shown]
	s_and_saveexec_b32 s1, s0
	s_cbranch_execz .LBB0_27
; %bb.26:
	v_add_nc_u16 v0, v16, 0x3b8
	v_lshrrev_b16 v1, 2, v0
	v_mul_u32_u24_sdwa v1, v1, v57 dst_sel:DWORD dst_unused:UNUSED_PAD src0_sel:WORD_0 src1_sel:DWORD
	v_lshrrev_b32_e32 v1, 17, v1
	v_mul_lo_u16 v1, v1, 28
	v_sub_nc_u16 v0, v0, v1
	v_lshlrev_b32_sdwa v0, v56, v0 dst_sel:DWORD dst_unused:UNUSED_PAD src0_sel:DWORD src1_sel:WORD_0
	global_load_dword v1, v0, s[8:9] offset:96
	v_add_nc_u32_e32 v0, 0, v0
	v_add_nc_u32_e32 v0, 0x1c00, v0
	s_waitcnt vmcnt(0)
	v_mul_f16_sdwa v2, v52, v1 dst_sel:DWORD dst_unused:UNUSED_PAD src0_sel:DWORD src1_sel:WORD_1
	v_mul_f16_sdwa v3, v15, v1 dst_sel:DWORD dst_unused:UNUSED_PAD src0_sel:DWORD src1_sel:WORD_1
	v_fma_f16 v2, v15, v1, -v2
	v_fmac_f16_e32 v3, v52, v1
	v_sub_f16_e32 v1, v54, v2
	v_sub_f16_e32 v2, v55, v3
	v_fma_f16 v3, v54, 2.0, -v1
	v_fma_f16 v4, v55, 2.0, -v2
	v_pack_b32_f16 v1, v1, v2
	v_pack_b32_f16 v2, v3, v4
	ds_write2_b32 v0, v2, v1 offset0:112 offset1:140
.LBB0_27:
	s_or_b32 exec_lo, exec_lo, s1
	v_mul_u32_u24_e32 v0, 6, v16
	s_waitcnt lgkmcnt(0)
	s_barrier
	buffer_gl0_inv
	v_mov_b32_e32 v1, 0x2493
	v_lshlrev_b32_e32 v0, 2, v0
	v_add_nc_u32_e32 v58, 0xc00, v51
	v_add_nc_u32_e32 v52, 0x1000, v51
	;; [unrolled: 1-line block ×4, first 2 shown]
	s_clause 0x1
	global_load_dwordx4 v[12:15], v0, s[8:9] offset:208
	global_load_dwordx2 v[39:40], v0, s[8:9] offset:224
	v_lshrrev_b16 v0, 3, v50
	v_add_nc_u32_e32 v54, 0x400, v51
	v_add_nc_u32_e32 v55, 0x200, v51
	;; [unrolled: 1-line block ×4, first 2 shown]
	v_mul_u32_u24_sdwa v0, v0, v1 dst_sel:DWORD dst_unused:UNUSED_PAD src0_sel:WORD_0 src1_sel:DWORD
	v_lshrrev_b16 v1, 3, v17
	v_add_nc_u32_e32 v60, 0x1c00, v51
	v_lshrrev_b32_e32 v0, 16, v0
	v_and_b32_e32 v1, 31, v1
	v_mul_lo_u16 v0, v0, 56
	v_sub_nc_u16 v0, v50, v0
	v_and_b32_e32 v21, 0xffff, v0
	v_mul_lo_u16 v0, v1, 37
	v_mul_u32_u24_e32 v1, 6, v21
	v_lshrrev_b16 v0, 8, v0
	v_lshlrev_b32_e32 v1, 2, v1
	v_mul_lo_u16 v0, v0, 56
	s_clause 0x1
	global_load_dwordx4 v[8:11], v1, s[8:9] offset:208
	global_load_dwordx2 v[35:36], v1, s[8:9] offset:224
	v_sub_nc_u16 v0, v17, v0
	v_and_b32_e32 v61, 0xff, v0
	v_mul_u32_u24_e32 v0, 6, v61
	v_lshlrev_b32_e32 v17, 2, v0
	v_lshrrev_b16 v0, 3, v49
	global_load_dwordx4 v[4:7], v17, s[8:9] offset:208
	v_and_b32_e32 v0, 31, v0
	v_mul_lo_u16 v0, v0, 37
	v_lshrrev_b16 v0, 8, v0
	v_mul_lo_u16 v0, v0, 56
	v_sub_nc_u16 v0, v49, v0
	v_and_b32_e32 v62, 0xff, v0
	v_mul_u32_u24_e32 v0, 6, v62
	v_lshlrev_b32_e32 v29, 2, v0
	s_clause 0x2
	global_load_dwordx4 v[0:3], v29, s[8:9] offset:208
	global_load_dwordx2 v[31:32], v17, s[8:9] offset:224
	global_load_dwordx2 v[29:30], v29, s[8:9] offset:224
	v_add_nc_u32_e32 v17, 0x800, v51
	ds_read_b32 v63, v51 offset:7616
	ds_read2_b32 v[47:48], v58 offset0:16 offset1:72
	ds_read2_b32 v[64:65], v52 offset0:96 offset1:152
	ds_read2_b32 v[49:50], v53 offset0:64 offset1:120
	ds_read2_b32 v[66:67], v57 offset0:144 offset1:200
	ds_read2_b32 v[43:44], v54 offset0:80 offset1:136
	ds_read2_b32 v[68:69], v17 offset0:48 offset1:104
	ds_read2_b32 v[45:46], v58 offset0:128 offset1:184
	ds_read2_b32 v[33:34], v53 offset0:176 offset1:232
	ds_read2_b32 v[37:38], v51 offset1:56
	ds_read2_b32 v[70:71], v51 offset0:112 offset1:168
	ds_read2_b32 v[72:73], v17 offset0:160 offset1:216
	;; [unrolled: 1-line block ×7, first 2 shown]
	ds_read2_b32 v[82:83], v60 offset1:56
	s_waitcnt vmcnt(0) lgkmcnt(0)
	s_barrier
	buffer_gl0_inv
	v_lshrrev_b32_e32 v85, 16, v48
	v_lshrrev_b32_e32 v86, 16, v64
	;; [unrolled: 1-line block ×27, first 2 shown]
	v_mul_f16_sdwa v112, v13, v96 dst_sel:DWORD dst_unused:UNUSED_PAD src0_sel:WORD_1 src1_sel:DWORD
	v_mul_f16_sdwa v113, v90, v13 dst_sel:DWORD dst_unused:UNUSED_PAD src0_sel:DWORD src1_sel:WORD_1
	v_mul_f16_sdwa v114, v13, v68 dst_sel:DWORD dst_unused:UNUSED_PAD src0_sel:WORD_1 src1_sel:DWORD
	v_mul_f16_sdwa v111, v12, v42 dst_sel:DWORD dst_unused:UNUSED_PAD src0_sel:WORD_1 src1_sel:DWORD
	v_mul_f16_sdwa v115, v86, v15 dst_sel:DWORD dst_unused:UNUSED_PAD src0_sel:DWORD src1_sel:WORD_1
	v_fma_f16 v68, v13, v68, -v112
	v_fma_f16 v112, v69, v13, -v113
	v_mul_f16_sdwa v113, v64, v15 dst_sel:DWORD dst_unused:UNUSED_PAD src0_sel:DWORD src1_sel:WORD_1
	v_mul_f16_sdwa v116, v92, v15 dst_sel:DWORD dst_unused:UNUSED_PAD src0_sel:DWORD src1_sel:WORD_1
	v_fmac_f16_e32 v114, v13, v96
	v_mul_f16_sdwa v96, v48, v14 dst_sel:DWORD dst_unused:UNUSED_PAD src0_sel:DWORD src1_sel:WORD_1
	v_mul_f16_sdwa v69, v69, v13 dst_sel:DWORD dst_unused:UNUSED_PAD src0_sel:DWORD src1_sel:WORD_1
	v_fmac_f16_e32 v113, v86, v15
	v_mul_f16_sdwa v86, v43, v12 dst_sel:DWORD dst_unused:UNUSED_PAD src0_sel:DWORD src1_sel:WORD_1
	v_fma_f16 v64, v64, v15, -v115
	v_fma_f16 v115, v65, v15, -v116
	v_mul_f16_sdwa v65, v65, v15 dst_sel:DWORD dst_unused:UNUSED_PAD src0_sel:DWORD src1_sel:WORD_1
	v_fmac_f16_e32 v111, v12, v99
	v_mul_f16_sdwa v99, v12, v99 dst_sel:DWORD dst_unused:UNUSED_PAD src0_sel:WORD_1 src1_sel:DWORD
	v_fmac_f16_e32 v96, v85, v14
	v_mul_f16_sdwa v85, v85, v14 dst_sel:DWORD dst_unused:UNUSED_PAD src0_sel:DWORD src1_sel:WORD_1
	v_fmac_f16_e32 v86, v89, v12
	v_mul_f16_sdwa v89, v89, v12 dst_sel:DWORD dst_unused:UNUSED_PAD src0_sel:DWORD src1_sel:WORD_1
	;; [unrolled: 2-line block ×3, first 2 shown]
	v_mul_f16_sdwa v90, v91, v14 dst_sel:DWORD dst_unused:UNUSED_PAD src0_sel:DWORD src1_sel:WORD_1
	v_fmac_f16_e32 v65, v92, v15
	v_mul_f16_sdwa v15, v88, v40 dst_sel:DWORD dst_unused:UNUSED_PAD src0_sel:DWORD src1_sel:WORD_1
	v_fma_f16 v42, v12, v42, -v99
	v_fma_f16 v48, v48, v14, -v85
	;; [unrolled: 1-line block ×3, first 2 shown]
	v_mul_f16_sdwa v43, v94, v40 dst_sel:DWORD dst_unused:UNUSED_PAD src0_sel:DWORD src1_sel:WORD_1
	v_mul_f16_sdwa v85, v50, v39 dst_sel:DWORD dst_unused:UNUSED_PAD src0_sel:DWORD src1_sel:WORD_1
	;; [unrolled: 1-line block ×3, first 2 shown]
	v_fmac_f16_e32 v13, v91, v14
	v_fma_f16 v14, v45, v14, -v90
	v_mul_f16_sdwa v45, v87, v39 dst_sel:DWORD dst_unused:UNUSED_PAD src0_sel:DWORD src1_sel:WORD_1
	v_fma_f16 v15, v66, v40, -v15
	v_fma_f16 v43, v67, v40, -v43
	v_mul_f16_sdwa v66, v67, v40 dst_sel:DWORD dst_unused:UNUSED_PAD src0_sel:DWORD src1_sel:WORD_1
	v_mul_f16_sdwa v67, v33, v39 dst_sel:DWORD dst_unused:UNUSED_PAD src0_sel:DWORD src1_sel:WORD_1
	v_fmac_f16_e32 v85, v87, v39
	v_mul_f16_sdwa v87, v93, v39 dst_sel:DWORD dst_unused:UNUSED_PAD src0_sel:DWORD src1_sel:WORD_1
	v_fmac_f16_e32 v89, v88, v40
	v_fma_f16 v45, v50, v39, -v45
	v_fmac_f16_e32 v67, v93, v39
	v_fmac_f16_e32 v66, v94, v40
	v_fma_f16 v33, v33, v39, -v87
	v_add_f16_e32 v39, v42, v15
	v_add_f16_e32 v40, v111, v89
	v_sub_f16_e32 v15, v42, v15
	v_sub_f16_e32 v42, v111, v89
	v_mul_f16_sdwa v111, v75, v8 dst_sel:DWORD dst_unused:UNUSED_PAD src0_sel:DWORD src1_sel:WORD_1
	v_mul_f16_sdwa v93, v100, v9 dst_sel:DWORD dst_unused:UNUSED_PAD src0_sel:DWORD src1_sel:WORD_1
	v_add_f16_e32 v87, v114, v85
	v_mul_f16_sdwa v99, v49, v11 dst_sel:DWORD dst_unused:UNUSED_PAD src0_sel:DWORD src1_sel:WORD_1
	v_add_f16_e32 v50, v68, v45
	v_fmac_f16_e32 v111, v98, v8
	v_mul_f16_sdwa v98, v98, v8 dst_sel:DWORD dst_unused:UNUSED_PAD src0_sel:DWORD src1_sel:WORD_1
	v_fma_f16 v93, v47, v9, -v93
	v_mul_f16_sdwa v47, v47, v9 dst_sel:DWORD dst_unused:UNUSED_PAD src0_sel:DWORD src1_sel:WORD_1
	v_sub_f16_e32 v45, v68, v45
	v_sub_f16_e32 v68, v114, v85
	v_fma_f16 v8, v75, v8, -v98
	v_mul_f16_sdwa v75, v95, v4 dst_sel:DWORD dst_unused:UNUSED_PAD src0_sel:DWORD src1_sel:WORD_1
	v_fmac_f16_e32 v47, v100, v9
	v_mul_f16_sdwa v9, v79, v10 dst_sel:DWORD dst_unused:UNUSED_PAD src0_sel:DWORD src1_sel:WORD_1
	v_add_f16_e32 v85, v48, v64
	v_add_f16_e32 v89, v96, v113
	v_fma_f16 v75, v44, v4, -v75
	v_mul_f16_sdwa v44, v44, v4 dst_sel:DWORD dst_unused:UNUSED_PAD src0_sel:DWORD src1_sel:WORD_1
	v_sub_f16_e32 v48, v64, v48
	v_sub_f16_e32 v64, v113, v96
	v_add_f16_e32 v90, v12, v43
	v_add_f16_e32 v91, v86, v66
	v_sub_f16_e32 v12, v12, v43
	v_sub_f16_e32 v43, v86, v66
	v_add_f16_e32 v66, v112, v33
	v_add_f16_e32 v86, v69, v67
	v_sub_f16_e32 v67, v69, v67
	v_add_f16_e32 v92, v13, v65
	v_sub_f16_e32 v13, v65, v13
	v_mul_f16_sdwa v94, v102, v11 dst_sel:DWORD dst_unused:UNUSED_PAD src0_sel:DWORD src1_sel:WORD_1
	v_add_f16_e32 v96, v87, v40
	v_fmac_f16_e32 v99, v102, v11
	v_fmac_f16_e32 v9, v101, v10
	v_mul_f16_sdwa v100, v101, v10 dst_sel:DWORD dst_unused:UNUSED_PAD src0_sel:DWORD src1_sel:WORD_1
	v_mul_f16_sdwa v98, v103, v6 dst_sel:DWORD dst_unused:UNUSED_PAD src0_sel:DWORD src1_sel:WORD_1
	v_mul_f16_sdwa v101, v46, v6 dst_sel:DWORD dst_unused:UNUSED_PAD src0_sel:DWORD src1_sel:WORD_1
	v_mul_f16_sdwa v102, v72, v5 dst_sel:DWORD dst_unused:UNUSED_PAD src0_sel:DWORD src1_sel:WORD_1
	v_fmac_f16_e32 v44, v95, v4
	v_mul_f16_sdwa v95, v97, v5 dst_sel:DWORD dst_unused:UNUSED_PAD src0_sel:DWORD src1_sel:WORD_1
	v_add_f16_e32 v69, v14, v115
	v_add_f16_e32 v65, v50, v39
	v_fma_f16 v49, v49, v11, -v94
	v_sub_f16_e32 v94, v50, v39
	v_sub_f16_e32 v11, v87, v40
	;; [unrolled: 1-line block ×5, first 2 shown]
	v_fma_f16 v10, v79, v10, -v100
	v_sub_f16_e32 v79, v89, v87
	v_add_f16_e32 v100, v64, v68
	v_fma_f16 v46, v46, v6, -v98
	v_mul_f16_sdwa v4, v76, v7 dst_sel:DWORD dst_unused:UNUSED_PAD src0_sel:DWORD src1_sel:WORD_1
	v_fmac_f16_e32 v101, v103, v6
	v_sub_f16_e32 v6, v64, v68
	v_fmac_f16_e32 v102, v97, v5
	v_mul_f16_sdwa v97, v104, v7 dst_sel:DWORD dst_unused:UNUSED_PAD src0_sel:DWORD src1_sel:WORD_1
	v_sub_f16_e32 v68, v68, v42
	v_fma_f16 v5, v72, v5, -v95
	v_add_f16_e32 v72, v66, v90
	v_add_f16_e32 v89, v89, v96
	;; [unrolled: 1-line block ×3, first 2 shown]
	v_sub_f16_e32 v33, v112, v33
	v_sub_f16_e32 v14, v115, v14
	v_add_f16_e32 v87, v48, v45
	v_fmac_f16_e32 v4, v104, v7
	v_sub_f16_e32 v64, v42, v64
	v_fma_f16 v7, v76, v7, -v97
	v_add_f16_e32 v76, v86, v91
	v_sub_f16_e32 v95, v66, v90
	v_sub_f16_e32 v97, v86, v91
	;; [unrolled: 1-line block ×6, first 2 shown]
	v_add_f16_e32 v42, v100, v42
	v_sub_f16_e32 v100, v13, v67
	v_sub_f16_e32 v13, v43, v13
	;; [unrolled: 1-line block ×3, first 2 shown]
	v_mul_f16_e32 v39, 0x3a52, v39
	v_add_f16_e32 v69, v69, v72
	v_mul_f16_e32 v72, 0x2b26, v50
	v_mul_f16_e32 v6, 0xb846, v6
	v_add_f16_e32 v43, v96, v43
	v_mul_f16_e32 v96, 0x3b00, v68
	v_sub_f16_e32 v98, v48, v45
	v_sub_f16_e32 v48, v15, v48
	;; [unrolled: 1-line block ×3, first 2 shown]
	v_add_f16_e32 v65, v85, v65
	v_add_f16_e32 v85, v14, v33
	;; [unrolled: 1-line block ×3, first 2 shown]
	v_sub_f16_e32 v87, v14, v33
	v_sub_f16_e32 v33, v33, v12
	v_mul_f16_e32 v90, 0x3a52, v90
	v_mul_f16_e32 v91, 0x3a52, v91
	v_fmamk_f16 v50, v50, 0x2b26, v39
	v_fma_f16 v72, v94, 0x39e0, -v72
	v_fma_f16 v39, v94, 0xb9e0, -v39
	v_mul_f16_e32 v94, 0x2b26, v66
	v_fma_f16 v68, v68, 0x3b00, -v6
	v_fmamk_f16 v6, v64, 0x3574, v6
	v_fma_f16 v64, v64, 0xb574, -v96
	v_mul_f16_e32 v96, 0x2b26, v86
	v_sub_f16_e32 v14, v12, v14
	v_mul_f16_e32 v40, 0x3a52, v40
	v_add_f16_e32 v76, v92, v76
	v_mul_f16_e32 v92, 0x2b26, v79
	v_mul_f16_e32 v98, 0xb846, v98
	v_add_f16_e32 v12, v85, v12
	v_mul_f16_e32 v85, 0x3b00, v45
	v_mul_f16_e32 v87, 0xb846, v87
	;; [unrolled: 1-line block ×3, first 2 shown]
	v_fmamk_f16 v66, v66, 0x2b26, v90
	v_fma_f16 v94, v95, 0x39e0, -v94
	v_fma_f16 v90, v95, 0xb9e0, -v90
	v_mul_f16_e32 v95, 0x3b00, v33
	v_fmamk_f16 v86, v86, 0x2b26, v91
	v_fma_f16 v96, v97, 0x39e0, -v96
	v_fma_f16 v91, v97, 0xb9e0, -v91
	v_mul_f16_e32 v97, 0x3b00, v67
	v_fmamk_f16 v79, v79, 0x2b26, v40
	v_fma_f16 v92, v11, 0x39e0, -v92
	v_fma_f16 v11, v11, 0xb9e0, -v40
	v_add_f16_e32 v40, v37, v65
	v_fma_f16 v45, v45, 0x3b00, -v98
	v_fmamk_f16 v98, v48, 0x3574, v98
	v_fma_f16 v48, v48, 0xb574, -v85
	v_add_f16_sdwa v37, v37, v89 dst_sel:DWORD dst_unused:UNUSED_PAD src0_sel:WORD_1 src1_sel:DWORD
	v_fma_f16 v33, v33, 0x3b00, -v87
	v_fmamk_f16 v87, v14, 0x3574, v87
	v_fma_f16 v14, v14, 0xb574, -v95
	v_fma_f16 v67, v67, 0x3b00, -v100
	v_fmamk_f16 v100, v13, 0x3574, v100
	v_fma_f16 v13, v13, 0xb574, -v97
	v_mul_f16_sdwa v97, v84, v36 dst_sel:DWORD dst_unused:UNUSED_PAD src0_sel:DWORD src1_sel:WORD_1
	v_lshrrev_b32_e32 v116, 16, v82
	v_add_f16_e32 v85, v38, v69
	v_add_f16_sdwa v38, v38, v76 dst_sel:DWORD dst_unused:UNUSED_PAD src0_sel:WORD_1 src1_sel:DWORD
	v_fmac_f16_e32 v98, 0x370e, v15
	v_fmac_f16_e32 v45, 0x370e, v15
	v_fmac_f16_e32 v48, 0x370e, v15
	v_mul_f16_sdwa v15, v81, v35 dst_sel:DWORD dst_unused:UNUSED_PAD src0_sel:DWORD src1_sel:WORD_1
	v_fmac_f16_e32 v6, 0x370e, v42
	v_fmac_f16_e32 v68, 0x370e, v42
	v_fmac_f16_e32 v64, 0x370e, v42
	v_mul_f16_sdwa v42, v63, v36 dst_sel:DWORD dst_unused:UNUSED_PAD src0_sel:DWORD src1_sel:WORD_1
	;; [unrolled: 4-line block ×3, first 2 shown]
	v_fmac_f16_e32 v100, 0x370e, v43
	v_fmac_f16_e32 v67, 0x370e, v43
	v_fmac_f16_e32 v13, 0x370e, v43
	v_fmamk_f16 v43, v65, 0xbcab, v40
	v_fmamk_f16 v65, v89, 0xbcab, v37
	v_fma_f16 v63, v63, v36, -v97
	v_mul_f16_sdwa v97, v106, v1 dst_sel:DWORD dst_unused:UNUSED_PAD src0_sel:DWORD src1_sel:WORD_1
	v_lshrrev_b32_e32 v95, 16, v83
	v_fmamk_f16 v76, v76, 0xbcab, v38
	v_mul_f16_sdwa v89, v105, v0 dst_sel:DWORD dst_unused:UNUSED_PAD src0_sel:DWORD src1_sel:WORD_1
	v_fmac_f16_e32 v15, v109, v35
	v_mul_f16_sdwa v103, v74, v0 dst_sel:DWORD dst_unused:UNUSED_PAD src0_sel:DWORD src1_sel:WORD_1
	v_fmac_f16_e32 v42, v84, v36
	v_mul_f16_sdwa v36, v107, v2 dst_sel:DWORD dst_unused:UNUSED_PAD src0_sel:DWORD src1_sel:WORD_1
	v_fma_f16 v12, v81, v35, -v12
	v_mul_f16_sdwa v35, v73, v1 dst_sel:DWORD dst_unused:UNUSED_PAD src0_sel:DWORD src1_sel:WORD_1
	v_fma_f16 v73, v73, v1, -v97
	v_mul_f16_sdwa v97, v110, v31 dst_sel:DWORD dst_unused:UNUSED_PAD src0_sel:DWORD src1_sel:WORD_1
	v_mul_f16_sdwa v104, v34, v31 dst_sel:DWORD dst_unused:UNUSED_PAD src0_sel:DWORD src1_sel:WORD_1
	v_add_f16_e32 v50, v50, v43
	v_add_f16_e32 v72, v72, v43
	;; [unrolled: 1-line block ×3, first 2 shown]
	v_mul_f16_sdwa v43, v116, v32 dst_sel:DWORD dst_unused:UNUSED_PAD src0_sel:DWORD src1_sel:WORD_1
	v_add_f16_e32 v79, v79, v65
	v_add_f16_e32 v92, v92, v65
	;; [unrolled: 1-line block ×3, first 2 shown]
	v_mul_f16_sdwa v65, v82, v32 dst_sel:DWORD dst_unused:UNUSED_PAD src0_sel:DWORD src1_sel:WORD_1
	v_lshrrev_b32_e32 v88, 16, v80
	v_fmamk_f16 v69, v69, 0xbcab, v85
	v_mul_f16_sdwa v81, v108, v3 dst_sel:DWORD dst_unused:UNUSED_PAD src0_sel:DWORD src1_sel:WORD_1
	v_fma_f16 v74, v74, v0, -v89
	v_mul_f16_sdwa v84, v78, v2 dst_sel:DWORD dst_unused:UNUSED_PAD src0_sel:DWORD src1_sel:WORD_1
	v_mul_f16_sdwa v89, v77, v3 dst_sel:DWORD dst_unused:UNUSED_PAD src0_sel:DWORD src1_sel:WORD_1
	v_add_f16_e32 v86, v86, v76
	v_add_f16_e32 v96, v96, v76
	;; [unrolled: 1-line block ×3, first 2 shown]
	v_fma_f16 v36, v78, v2, -v36
	v_mul_f16_sdwa v78, v95, v30 dst_sel:DWORD dst_unused:UNUSED_PAD src0_sel:DWORD src1_sel:WORD_1
	v_fmac_f16_e32 v103, v105, v0
	v_fmac_f16_e32 v35, v106, v1
	v_fma_f16 v0, v34, v31, -v97
	v_fmac_f16_e32 v104, v110, v31
	v_fmac_f16_e32 v65, v116, v32
	v_fma_f16 v1, v82, v32, -v43
	v_add_f16_e32 v66, v66, v69
	v_add_f16_e32 v94, v94, v69
	;; [unrolled: 1-line block ×3, first 2 shown]
	v_mul_f16_sdwa v90, v88, v29 dst_sel:DWORD dst_unused:UNUSED_PAD src0_sel:DWORD src1_sel:WORD_1
	v_mul_f16_sdwa v91, v80, v29 dst_sel:DWORD dst_unused:UNUSED_PAD src0_sel:DWORD src1_sel:WORD_1
	;; [unrolled: 1-line block ×3, first 2 shown]
	v_fma_f16 v77, v77, v3, -v81
	v_fmac_f16_e32 v89, v108, v3
	v_fma_f16 v3, v83, v30, -v78
	v_sub_f16_e32 v78, v76, v14
	v_add_f16_e32 v14, v14, v76
	v_add_f16_e32 v76, v75, v1
	;; [unrolled: 1-line block ×3, first 2 shown]
	v_sub_f16_e32 v1, v75, v1
	v_sub_f16_e32 v44, v44, v65
	v_add_f16_e32 v65, v5, v0
	v_add_f16_e32 v75, v102, v104
	v_sub_f16_e32 v0, v5, v0
	v_add_f16_e32 v82, v46, v7
	v_add_f16_e32 v83, v101, v4
	v_sub_f16_e32 v7, v7, v46
	v_fmac_f16_e32 v84, v107, v2
	v_fma_f16 v2, v80, v29, -v90
	v_fmac_f16_e32 v91, v88, v29
	v_add_f16_e32 v31, v64, v39
	v_sub_f16_e32 v34, v72, v68
	v_add_f16_e32 v68, v68, v72
	v_sub_f16_e32 v39, v39, v64
	v_sub_f16_e32 v64, v86, v87
	v_add_f16_e32 v72, v13, v69
	v_sub_f16_e32 v13, v69, v13
	v_add_f16_e32 v69, v87, v86
	v_sub_f16_e32 v5, v102, v104
	v_sub_f16_e32 v4, v4, v101
	v_add_f16_e32 v46, v65, v76
	v_add_f16_e32 v86, v75, v81
	v_sub_f16_e32 v87, v65, v76
	v_sub_f16_e32 v88, v75, v81
	;; [unrolled: 1-line block ×6, first 2 shown]
	v_add_f16_e32 v90, v7, v0
	v_fmac_f16_e32 v109, v95, v30
	v_sub_f16_e32 v30, v79, v98
	v_sub_f16_e32 v32, v11, v48
	v_add_f16_e32 v43, v45, v92
	v_sub_f16_e32 v45, v92, v45
	v_add_f16_e32 v11, v48, v11
	v_add_f16_e32 v48, v98, v79
	v_sub_f16_e32 v79, v94, v67
	v_add_f16_e32 v67, v67, v94
	v_add_f16_e32 v92, v4, v5
	v_sub_f16_e32 v94, v7, v0
	v_sub_f16_e32 v95, v4, v5
	v_sub_f16_e32 v7, v1, v7
	v_sub_f16_e32 v0, v0, v1
	v_add_f16_e32 v46, v82, v46
	v_add_f16_e32 v82, v83, v86
	v_sub_f16_e32 v5, v5, v44
	v_add_f16_e32 v1, v90, v1
	v_mul_f16_e32 v76, 0x3a52, v76
	v_mul_f16_e32 v81, 0x3a52, v81
	;; [unrolled: 1-line block ×4, first 2 shown]
	v_sub_f16_e32 v4, v44, v4
	v_add_f16_e32 v44, v92, v44
	v_add_f16_e32 v83, v70, v46
	v_add_f16_sdwa v70, v70, v82 dst_sel:DWORD dst_unused:UNUSED_PAD src0_sel:WORD_1 src1_sel:DWORD
	v_mul_f16_e32 v92, 0xb846, v94
	v_mul_f16_e32 v94, 0xb846, v95
	v_fmamk_f16 v65, v65, 0x2b26, v76
	v_fma_f16 v86, v87, 0x39e0, -v86
	v_fma_f16 v76, v87, 0xb9e0, -v76
	v_mul_f16_e32 v87, 0x3b00, v0
	v_fmamk_f16 v75, v75, 0x2b26, v81
	v_fma_f16 v90, v88, 0x39e0, -v90
	v_fma_f16 v81, v88, 0xb9e0, -v81
	v_mul_f16_e32 v88, 0x3b00, v5
	v_fmamk_f16 v46, v46, 0xbcab, v83
	v_fmamk_f16 v82, v82, 0xbcab, v70
	v_fma_f16 v0, v0, 0x3b00, -v92
	v_fmamk_f16 v92, v7, 0x3574, v92
	v_fma_f16 v5, v5, 0x3b00, -v94
	;; [unrolled: 2-line block ×3, first 2 shown]
	v_fma_f16 v4, v4, 0xb574, -v88
	v_add_f16_e32 v65, v65, v46
	v_add_f16_e32 v75, v75, v82
	;; [unrolled: 1-line block ×6, first 2 shown]
	v_fmac_f16_e32 v92, 0x370e, v1
	v_fmac_f16_e32 v94, 0x370e, v44
	;; [unrolled: 1-line block ×6, first 2 shown]
	v_add_f16_e32 v1, v94, v65
	v_sub_f16_e32 v44, v75, v92
	v_add_f16_e32 v81, v4, v46
	v_sub_f16_e32 v82, v76, v7
	v_sub_f16_e32 v88, v86, v5
	v_add_f16_e32 v90, v0, v87
	v_add_f16_e32 v5, v5, v86
	v_sub_f16_e32 v0, v87, v0
	v_sub_f16_e32 v4, v46, v4
	v_add_f16_e32 v7, v7, v76
	v_sub_f16_e32 v46, v65, v94
	v_add_f16_e32 v65, v92, v75
	v_add_f16_e32 v75, v74, v3
	;; [unrolled: 1-line block ×5, first 2 shown]
	v_sub_f16_e32 v2, v73, v2
	v_sub_f16_e32 v35, v35, v91
	v_add_f16_e32 v73, v36, v77
	v_add_f16_e32 v91, v84, v89
	v_sub_f16_e32 v36, v77, v36
	v_sub_f16_e32 v77, v89, v84
	v_add_f16_e32 v80, v33, v96
	v_sub_f16_e32 v33, v96, v33
	v_sub_f16_e32 v3, v74, v3
	;; [unrolled: 1-line block ×3, first 2 shown]
	v_add_f16_e32 v84, v86, v75
	v_add_f16_e32 v89, v87, v76
	v_sub_f16_e32 v92, v86, v75
	v_sub_f16_e32 v94, v87, v76
	v_sub_f16_e32 v75, v75, v73
	v_sub_f16_e32 v76, v76, v91
	v_sub_f16_e32 v86, v73, v86
	v_sub_f16_e32 v87, v91, v87
	v_add_f16_e32 v96, v77, v35
	v_add_f16_e32 v95, v36, v2
	;; [unrolled: 1-line block ×3, first 2 shown]
	v_sub_f16_e32 v84, v36, v2
	v_add_f16_e32 v89, v91, v89
	v_sub_f16_e32 v91, v77, v35
	v_sub_f16_e32 v77, v74, v77
	;; [unrolled: 1-line block ×4, first 2 shown]
	v_add_f16_e32 v74, v96, v74
	v_mul_f16_e32 v75, 0x3a52, v75
	v_mul_f16_e32 v76, 0x3a52, v76
	;; [unrolled: 1-line block ×4, first 2 shown]
	v_sub_f16_e32 v36, v3, v36
	v_add_f16_e32 v3, v95, v3
	v_add_f16_e32 v95, v71, v73
	v_add_f16_sdwa v71, v71, v89 dst_sel:DWORD dst_unused:UNUSED_PAD src0_sel:WORD_1 src1_sel:DWORD
	v_mul_f16_e32 v84, 0xb846, v84
	v_mul_f16_e32 v91, 0xb846, v91
	v_fmamk_f16 v86, v86, 0x2b26, v75
	v_fma_f16 v96, v92, 0x39e0, -v96
	v_fma_f16 v75, v92, 0xb9e0, -v75
	v_mul_f16_e32 v92, 0x3b00, v2
	v_fmamk_f16 v87, v87, 0x2b26, v76
	v_fma_f16 v97, v94, 0x39e0, -v97
	v_fma_f16 v76, v94, 0xb9e0, -v76
	v_mul_f16_e32 v94, 0x3b00, v35
	v_add_f16_e32 v29, v6, v50
	v_fmamk_f16 v73, v73, 0xbcab, v95
	v_fmamk_f16 v89, v89, 0xbcab, v71
	v_fma_f16 v2, v2, 0x3b00, -v84
	v_fmamk_f16 v84, v36, 0x3574, v84
	v_fma_f16 v35, v35, 0x3b00, -v91
	;; [unrolled: 2-line block ×3, first 2 shown]
	v_fma_f16 v77, v77, 0xb574, -v94
	v_sub_f16_e32 v6, v50, v6
	v_pack_b32_f16 v37, v40, v37
	v_pack_b32_f16 v29, v29, v30
	v_add_f16_e32 v50, v100, v66
	v_pack_b32_f16 v30, v31, v32
	v_pack_b32_f16 v31, v34, v43
	v_pack_b32_f16 v32, v68, v45
	v_pack_b32_f16 v11, v39, v11
	v_add_f16_e32 v86, v86, v73
	v_add_f16_e32 v87, v87, v89
	;; [unrolled: 1-line block ×5, first 2 shown]
	v_fmac_f16_e32 v84, 0x370e, v3
	v_fmac_f16_e32 v91, 0x370e, v74
	;; [unrolled: 1-line block ×4, first 2 shown]
	ds_write2_b32 v51, v37, v29 offset1:56
	ds_write2_b32 v51, v30, v31 offset0:112 offset1:168
	ds_write2_b32 v55, v32, v11 offset0:96 offset1:152
	v_pack_b32_f16 v6, v6, v48
	v_pack_b32_f16 v11, v85, v38
	v_sub_f16_e32 v66, v66, v100
	v_pack_b32_f16 v29, v50, v64
	v_pack_b32_f16 v30, v72, v78
	v_add_f16_e32 v94, v97, v89
	v_fmac_f16_e32 v2, 0x370e, v3
	v_fmac_f16_e32 v35, 0x370e, v74
	v_add_f16_e32 v3, v91, v86
	v_sub_f16_e32 v74, v87, v84
	v_add_f16_e32 v76, v77, v73
	v_sub_f16_e32 v89, v75, v36
	v_sub_f16_e32 v73, v73, v77
	v_add_f16_e32 v36, v36, v75
	v_sub_f16_e32 v75, v86, v91
	v_add_f16_e32 v77, v84, v87
	v_add_f16_e32 v84, v8, v63
	;; [unrolled: 1-line block ×3, first 2 shown]
	v_sub_f16_e32 v8, v8, v63
	v_add_f16_e32 v63, v93, v12
	v_add_f16_e32 v87, v47, v15
	v_sub_f16_e32 v15, v47, v15
	v_add_f16_e32 v47, v10, v49
	v_add_f16_e32 v91, v9, v99
	v_sub_f16_e32 v9, v99, v9
	v_pack_b32_f16 v31, v79, v80
	v_pack_b32_f16 v32, v67, v33
	ds_write2_b32 v54, v6, v11 offset0:80 offset1:136
	ds_write2_b32 v54, v29, v30 offset0:192 offset1:248
	v_lshl_add_u32 v6, v61, 2, 0
	v_pack_b32_f16 v13, v13, v14
	v_pack_b32_f16 v14, v66, v69
	v_sub_f16_e32 v96, v92, v35
	v_add_f16_e32 v35, v35, v92
	v_sub_f16_e32 v12, v93, v12
	v_sub_f16_e32 v10, v49, v10
	v_add_f16_e32 v49, v63, v84
	v_add_f16_e32 v92, v87, v86
	;; [unrolled: 1-line block ×3, first 2 shown]
	v_sub_f16_e32 v2, v94, v2
	v_sub_f16_e32 v42, v111, v42
	;; [unrolled: 1-line block ×8, first 2 shown]
	v_add_f16_e32 v99, v9, v15
	ds_write2_b32 v17, v31, v32 offset0:48 offset1:104
	ds_write2_b32 v17, v13, v14 offset0:160 offset1:216
	v_pack_b32_f16 v11, v83, v70
	v_pack_b32_f16 v1, v1, v44
	v_add_nc_u32_e32 v13, 0xc00, v6
	v_pack_b32_f16 v14, v81, v82
	v_pack_b32_f16 v29, v88, v90
	v_add_f16_e32 v98, v10, v12
	v_add_f16_e32 v47, v47, v49
	v_sub_f16_e32 v49, v10, v12
	v_add_f16_e32 v91, v91, v92
	v_sub_f16_e32 v92, v9, v15
	v_sub_f16_e32 v9, v42, v9
	;; [unrolled: 1-line block ×4, first 2 shown]
	v_add_f16_e32 v42, v99, v42
	v_mul_f16_e32 v84, 0x3a52, v84
	v_mul_f16_e32 v86, 0x3a52, v86
	;; [unrolled: 1-line block ×4, first 2 shown]
	v_pack_b32_f16 v0, v5, v0
	v_pack_b32_f16 v4, v4, v7
	v_add_nc_u32_e32 v5, 0xe00, v6
	ds_write2_b32 v13, v11, v1 offset0:16 offset1:72
	ds_write2_b32 v13, v14, v29 offset0:128 offset1:184
	v_lshl_add_u32 v1, v62, 2, 0
	v_pack_b32_f16 v7, v46, v65
	v_sub_f16_e32 v10, v8, v10
	v_add_f16_e32 v8, v98, v8
	v_add_f16_e32 v98, v41, v47
	v_add_f16_sdwa v41, v41, v91 dst_sel:DWORD dst_unused:UNUSED_PAD src0_sel:WORD_1 src1_sel:DWORD
	v_mul_f16_e32 v49, 0xb846, v49
	v_mul_f16_e32 v92, 0xb846, v92
	v_fmamk_f16 v63, v63, 0x2b26, v84
	v_fma_f16 v99, v93, 0x39e0, -v99
	v_fma_f16 v84, v93, 0xb9e0, -v84
	v_mul_f16_e32 v93, 0x3b00, v12
	v_fmamk_f16 v87, v87, 0x2b26, v86
	v_fma_f16 v100, v94, 0x39e0, -v100
	v_fma_f16 v86, v94, 0xb9e0, -v86
	v_mul_f16_e32 v94, 0x3b00, v15
	ds_write2_b32 v5, v0, v4 offset0:112 offset1:168
	ds_write_b32 v6, v7 offset:4480
	v_pack_b32_f16 v0, v95, v71
	v_pack_b32_f16 v3, v3, v74
	v_add_nc_u32_e32 v4, 0x1000, v1
	v_pack_b32_f16 v5, v76, v89
	v_pack_b32_f16 v6, v96, v97
	v_add_nc_u32_e32 v7, 0x1400, v1
	v_fmamk_f16 v47, v47, 0xbcab, v98
	v_fmamk_f16 v91, v91, 0xbcab, v41
	v_fma_f16 v12, v12, 0x3b00, -v49
	v_fmamk_f16 v49, v10, 0x3574, v49
	v_fma_f16 v15, v15, 0x3b00, -v92
	;; [unrolled: 2-line block ×3, first 2 shown]
	v_fma_f16 v9, v9, 0xb574, -v94
	v_pack_b32_f16 v2, v35, v2
	v_pack_b32_f16 v11, v73, v36
	ds_write2_b32 v4, v0, v3 offset0:152 offset1:208
	ds_write2_b32 v7, v5, v6 offset0:8 offset1:64
	v_lshl_add_u32 v3, v21, 2, 0
	v_mov_b32_e32 v21, v22
	v_pack_b32_f16 v13, v75, v77
	v_add_f16_e32 v63, v63, v47
	v_add_f16_e32 v87, v87, v91
	v_fmac_f16_e32 v49, 0x370e, v8
	v_fmac_f16_e32 v92, 0x370e, v42
	v_add_f16_e32 v93, v99, v47
	v_add_f16_e32 v94, v100, v91
	v_add_f16_e32 v47, v84, v47
	v_add_f16_e32 v84, v86, v91
	v_fmac_f16_e32 v12, 0x370e, v8
	v_fmac_f16_e32 v9, 0x370e, v42
	;; [unrolled: 1-line block ×4, first 2 shown]
	ds_write2_b32 v7, v2, v11 offset0:120 offset1:176
	ds_write_b32 v1, v13 offset:6048
	v_lshlrev_b64 v[0:1], 2, v[20:21]
	v_add_f16_e32 v8, v92, v63
	v_sub_f16_e32 v42, v87, v49
	v_add_f16_e32 v86, v9, v47
	v_sub_f16_e32 v91, v84, v10
	v_sub_f16_e32 v99, v93, v15
	v_add_f16_e32 v100, v12, v94
	v_add_f16_e32 v15, v15, v93
	v_sub_f16_e32 v12, v94, v12
	v_sub_f16_e32 v9, v47, v9
	v_add_f16_e32 v10, v10, v84
	v_sub_f16_e32 v47, v63, v92
	v_add_f16_e32 v49, v49, v87
	v_add_co_u32 v0, s0, s8, v0
	v_pack_b32_f16 v2, v98, v41
	v_pack_b32_f16 v4, v8, v42
	v_add_nc_u32_e32 v5, 0x1800, v3
	v_add_co_ci_u32_e64 v1, s0, s9, v1, s0
	v_mov_b32_e32 v29, v22
	v_pack_b32_f16 v6, v86, v91
	v_pack_b32_f16 v7, v99, v100
	;; [unrolled: 1-line block ×4, first 2 shown]
	v_add_nc_u32_e32 v10, 0x1c00, v3
	v_pack_b32_f16 v11, v47, v49
	ds_write2_b32 v5, v2, v4 offset0:32 offset1:88
	ds_write2_b32 v5, v6, v7 offset0:144 offset1:200
	ds_write2_b32 v10, v8, v9 offset1:56
	ds_write_b32 v3, v11 offset:7616
	s_waitcnt lgkmcnt(0)
	s_barrier
	buffer_gl0_inv
	global_load_dwordx4 v[30:33], v[0:1], off offset:1552
	v_lshlrev_b64 v[0:1], 2, v[28:29]
	v_mov_b32_e32 v28, v22
	v_add_co_u32 v0, s0, s8, v0
	v_add_co_ci_u32_e64 v1, s0, s9, v1, s0
	global_load_dwordx4 v[34:37], v[0:1], off offset:1552
	v_lshlrev_b64 v[0:1], 2, v[27:28]
	v_mov_b32_e32 v27, v22
	v_add_co_u32 v0, s0, s8, v0
	v_add_co_ci_u32_e64 v1, s0, s9, v1, s0
	;; [unrolled: 5-line block ×3, first 2 shown]
	global_load_dwordx4 v[42:45], v[0:1], off offset:1552
	v_lshlrev_b64 v[0:1], 2, v[25:26]
	v_mov_b32_e32 v25, v22
	v_add_co_u32 v0, s0, s8, v0
	v_lshlrev_b64 v[2:3], 2, v[24:25]
	v_add_co_ci_u32_e64 v1, s0, s9, v1, s0
	v_mov_b32_e32 v24, v22
	global_load_dwordx4 v[25:28], v[0:1], off offset:1552
	v_add_co_u32 v0, s0, s8, v2
	v_add_co_ci_u32_e64 v1, s0, s9, v3, s0
	global_load_dwordx4 v[72:75], v[0:1], off offset:1552
	v_lshlrev_b64 v[0:1], 2, v[23:24]
	v_add_co_u32 v0, s0, s8, v0
	v_add_co_ci_u32_e64 v1, s0, s9, v1, s0
	global_load_dwordx4 v[76:79], v[0:1], off offset:1552
	ds_read2_b32 v[6:7], v51 offset1:56
	ds_read2_b32 v[14:15], v52 offset0:96 offset1:152
	ds_read2_b32 v[20:21], v57 offset0:32 offset1:88
	;; [unrolled: 1-line block ×13, first 2 shown]
	ds_read2_b32 v[82:83], v60 offset1:56
	ds_read2_b32 v[86:87], v53 offset0:176 offset1:232
	ds_read2_b32 v[2:3], v55 offset0:96 offset1:152
	s_waitcnt lgkmcnt(16)
	v_lshrrev_b32_e32 v13, 16, v6
	s_waitcnt lgkmcnt(15)
	v_lshrrev_b32_e32 v24, 16, v15
	s_waitcnt lgkmcnt(14)
	v_lshrrev_b32_e32 v29, 16, v20
	s_waitcnt lgkmcnt(13)
	v_lshrrev_b32_e32 v50, 16, v22
	s_waitcnt lgkmcnt(12)
	v_lshrrev_b32_e32 v104, 16, v46
	s_waitcnt lgkmcnt(11)
	v_lshrrev_b32_e32 v70, 16, v48
	v_lshrrev_b32_e32 v90, 16, v49
	v_lshrrev_b32_e32 v88, 16, v23
	s_waitcnt lgkmcnt(6)
	v_lshrrev_b32_e32 v101, 16, v1
	v_lshrrev_b32_e32 v91, 16, v63
	v_lshrrev_b32_e32 v89, 16, v61
	v_lshrrev_b32_e32 v93, 16, v62
	v_lshrrev_b32_e32 v92, 16, v65
	v_lshrrev_b32_e32 v95, 16, v64
	v_lshrrev_b32_e32 v67, 16, v47
	s_waitcnt lgkmcnt(5)
	v_lshrrev_b32_e32 v94, 16, v68
	s_waitcnt lgkmcnt(4)
	v_lshrrev_b32_e32 v97, 16, v80
	v_lshrrev_b32_e32 v71, 16, v21
	;; [unrolled: 1-line block ×4, first 2 shown]
	s_waitcnt lgkmcnt(3)
	v_lshrrev_b32_e32 v100, 16, v84
	s_waitcnt lgkmcnt(2)
	v_lshrrev_b32_e32 v99, 16, v82
	v_lshrrev_b32_e32 v102, 16, v81
	v_lshrrev_b32_e32 v11, 16, v7
	v_lshrrev_b32_e32 v12, 16, v4
	v_lshrrev_b32_e32 v9, 16, v5
	s_waitcnt lgkmcnt(0)
	v_lshrrev_b32_e32 v10, 16, v2
	v_lshrrev_b32_e32 v8, 16, v3
	s_waitcnt vmcnt(6)
	v_mul_f16_sdwa v103, v30, v1 dst_sel:DWORD dst_unused:UNUSED_PAD src0_sel:WORD_1 src1_sel:DWORD
	v_mul_f16_sdwa v105, v31, v46 dst_sel:DWORD dst_unused:UNUSED_PAD src0_sel:WORD_1 src1_sel:DWORD
	;; [unrolled: 1-line block ×3, first 2 shown]
	v_mul_f16_sdwa v107, v15, v32 dst_sel:DWORD dst_unused:UNUSED_PAD src0_sel:DWORD src1_sel:WORD_1
	v_mul_f16_sdwa v108, v20, v33 dst_sel:DWORD dst_unused:UNUSED_PAD src0_sel:DWORD src1_sel:WORD_1
	v_fmac_f16_e32 v103, v30, v101
	v_mul_f16_sdwa v101, v31, v104 dst_sel:DWORD dst_unused:UNUSED_PAD src0_sel:WORD_1 src1_sel:DWORD
	v_fmac_f16_e32 v105, v31, v104
	v_mul_f16_sdwa v104, v24, v32 dst_sel:DWORD dst_unused:UNUSED_PAD src0_sel:DWORD src1_sel:WORD_1
	v_fmac_f16_e32 v107, v24, v32
	v_mul_f16_sdwa v24, v29, v33 dst_sel:DWORD dst_unused:UNUSED_PAD src0_sel:DWORD src1_sel:WORD_1
	v_fma_f16 v46, v31, v46, -v101
	v_fmac_f16_e32 v108, v29, v33
	v_fma_f16 v106, v30, v1, -v106
	s_waitcnt vmcnt(5)
	v_mul_f16_sdwa v101, v22, v34 dst_sel:DWORD dst_unused:UNUSED_PAD src0_sel:DWORD src1_sel:WORD_1
	v_fma_f16 v31, v20, v33, -v24
	v_mul_f16_sdwa v20, v50, v34 dst_sel:DWORD dst_unused:UNUSED_PAD src0_sel:DWORD src1_sel:WORD_1
	v_mul_f16_sdwa v29, v70, v36 dst_sel:DWORD dst_unused:UNUSED_PAD src0_sel:DWORD src1_sel:WORD_1
	;; [unrolled: 1-line block ×3, first 2 shown]
	v_fmac_f16_e32 v101, v50, v34
	v_mul_f16_sdwa v50, v48, v36 dst_sel:DWORD dst_unused:UNUSED_PAD src0_sel:DWORD src1_sel:WORD_1
	v_fma_f16 v32, v15, v32, -v104
	v_fma_f16 v110, v48, v36, -v29
	ds_read_b32 v29, v51 offset:7616
	v_lshrrev_b32_e32 v15, 16, v86
	v_fmac_f16_e32 v50, v70, v36
	v_fma_f16 v70, v22, v34, -v20
	v_lshrrev_b32_e32 v24, 16, v83
	s_waitcnt vmcnt(4)
	v_mul_f16_sdwa v111, v23, v38 dst_sel:DWORD dst_unused:UNUSED_PAD src0_sel:DWORD src1_sel:WORD_1
	v_mul_f16_sdwa v22, v90, v40 dst_sel:DWORD dst_unused:UNUSED_PAD src0_sel:DWORD src1_sel:WORD_1
	;; [unrolled: 1-line block ×5, first 2 shown]
	v_fmac_f16_e32 v111, v88, v38
	v_mul_f16_sdwa v88, v61, v39 dst_sel:DWORD dst_unused:UNUSED_PAD src0_sel:DWORD src1_sel:WORD_1
	v_fma_f16 v113, v49, v40, -v22
	v_mul_f16_sdwa v22, v91, v41 dst_sel:DWORD dst_unused:UNUSED_PAD src0_sel:DWORD src1_sel:WORD_1
	v_fma_f16 v112, v23, v38, -v20
	v_mul_f16_sdwa v20, v89, v39 dst_sel:DWORD dst_unused:UNUSED_PAD src0_sel:DWORD src1_sel:WORD_1
	v_fmac_f16_e32 v88, v89, v39
	v_fmac_f16_e32 v114, v90, v40
	v_fma_f16 v89, v63, v41, -v22
	s_waitcnt vmcnt(3)
	v_mul_f16_sdwa v90, v65, v42 dst_sel:DWORD dst_unused:UNUSED_PAD src0_sel:DWORD src1_sel:WORD_1
	v_mul_f16_sdwa v22, v93, v43 dst_sel:DWORD dst_unused:UNUSED_PAD src0_sel:DWORD src1_sel:WORD_1
	v_fma_f16 v116, v61, v39, -v20
	v_mul_f16_sdwa v20, v92, v42 dst_sel:DWORD dst_unused:UNUSED_PAD src0_sel:DWORD src1_sel:WORD_1
	v_mul_f16_sdwa v118, v68, v44 dst_sel:DWORD dst_unused:UNUSED_PAD src0_sel:DWORD src1_sel:WORD_1
	v_fmac_f16_e32 v90, v92, v42
	v_fma_f16 v92, v62, v43, -v22
	v_mul_f16_sdwa v22, v95, v45 dst_sel:DWORD dst_unused:UNUSED_PAD src0_sel:DWORD src1_sel:WORD_1
	v_fmac_f16_e32 v115, v91, v41
	v_fma_f16 v91, v65, v42, -v20
	v_mul_f16_sdwa v117, v62, v43 dst_sel:DWORD dst_unused:UNUSED_PAD src0_sel:DWORD src1_sel:WORD_1
	v_mul_f16_sdwa v20, v94, v44 dst_sel:DWORD dst_unused:UNUSED_PAD src0_sel:DWORD src1_sel:WORD_1
	v_fmac_f16_e32 v118, v94, v44
	v_fma_f16 v94, v64, v45, -v22
	v_mul_f16_sdwa v104, v47, v35 dst_sel:DWORD dst_unused:UNUSED_PAD src0_sel:DWORD src1_sel:WORD_1
	s_waitcnt vmcnt(2)
	v_mul_f16_sdwa v22, v97, v26 dst_sel:DWORD dst_unused:UNUSED_PAD src0_sel:DWORD src1_sel:WORD_1
	v_fma_f16 v109, v47, v35, -v1
	v_mul_f16_sdwa v1, v71, v37 dst_sel:DWORD dst_unused:UNUSED_PAD src0_sel:DWORD src1_sel:WORD_1
	v_fmac_f16_e32 v117, v93, v43
	v_fma_f16 v93, v68, v44, -v20
	v_mul_f16_sdwa v20, v96, v25 dst_sel:DWORD dst_unused:UNUSED_PAD src0_sel:DWORD src1_sel:WORD_1
	v_mul_f16_sdwa v23, v98, v27 dst_sel:DWORD dst_unused:UNUSED_PAD src0_sel:DWORD src1_sel:WORD_1
	v_fma_f16 v65, v80, v26, -v22
	s_waitcnt vmcnt(1)
	v_mul_f16_sdwa v22, v100, v72 dst_sel:DWORD dst_unused:UNUSED_PAD src0_sel:DWORD src1_sel:WORD_1
	v_fmac_f16_e32 v104, v67, v35
	v_fma_f16 v47, v21, v37, -v1
	v_mul_f16_sdwa v67, v21, v37 dst_sel:DWORD dst_unused:UNUSED_PAD src0_sel:DWORD src1_sel:WORD_1
	v_lshrrev_b32_e32 v21, 16, v85
	v_lshrrev_b32_e32 v30, 16, v14
	v_mul_f16_sdwa v48, v66, v25 dst_sel:DWORD dst_unused:UNUSED_PAD src0_sel:DWORD src1_sel:WORD_1
	v_fma_f16 v68, v66, v25, -v20
	v_fma_f16 v66, v69, v27, -v23
	v_mul_f16_sdwa v20, v99, v28 dst_sel:DWORD dst_unused:UNUSED_PAD src0_sel:DWORD src1_sel:WORD_1
	v_fma_f16 v42, v84, v72, -v22
	v_mul_f16_sdwa v22, v15, v74 dst_sel:DWORD dst_unused:UNUSED_PAD src0_sel:DWORD src1_sel:WORD_1
	v_mul_f16_sdwa v23, v24, v75 dst_sel:DWORD dst_unused:UNUSED_PAD src0_sel:DWORD src1_sel:WORD_1
	v_fmac_f16_e32 v67, v71, v37
	s_waitcnt lgkmcnt(0)
	v_lshrrev_b32_e32 v37, 16, v29
	v_mul_f16_sdwa v63, v69, v27 dst_sel:DWORD dst_unused:UNUSED_PAD src0_sel:DWORD src1_sel:WORD_1
	v_fma_f16 v71, v82, v28, -v20
	v_mul_f16_sdwa v20, v102, v73 dst_sel:DWORD dst_unused:UNUSED_PAD src0_sel:DWORD src1_sel:WORD_1
	v_mul_f16_sdwa v36, v86, v74 dst_sel:DWORD dst_unused:UNUSED_PAD src0_sel:DWORD src1_sel:WORD_1
	v_fma_f16 v41, v86, v74, -v22
	v_fma_f16 v43, v83, v75, -v23
	v_mul_f16_sdwa v38, v83, v75 dst_sel:DWORD dst_unused:UNUSED_PAD src0_sel:DWORD src1_sel:WORD_1
	s_waitcnt vmcnt(0)
	v_mul_f16_sdwa v22, v21, v76 dst_sel:DWORD dst_unused:UNUSED_PAD src0_sel:DWORD src1_sel:WORD_1
	v_mul_f16_sdwa v23, v30, v77 dst_sel:DWORD dst_unused:UNUSED_PAD src0_sel:DWORD src1_sel:WORD_1
	v_lshrrev_b32_e32 v33, 16, v87
	v_mul_f16_sdwa v119, v64, v45 dst_sel:DWORD dst_unused:UNUSED_PAD src0_sel:DWORD src1_sel:WORD_1
	v_fmac_f16_e32 v48, v96, v25
	v_fmac_f16_e32 v63, v98, v27
	v_fma_f16 v40, v81, v73, -v20
	v_fmac_f16_e32 v36, v15, v74
	v_mul_f16_sdwa v15, v85, v76 dst_sel:DWORD dst_unused:UNUSED_PAD src0_sel:DWORD src1_sel:WORD_1
	v_mul_f16_sdwa v20, v14, v77 dst_sel:DWORD dst_unused:UNUSED_PAD src0_sel:DWORD src1_sel:WORD_1
	v_fmac_f16_e32 v38, v24, v75
	v_fma_f16 v27, v85, v76, -v22
	v_fma_f16 v22, v14, v77, -v23
	v_add_f16_e32 v14, v46, v32
	v_mul_f16_sdwa v24, v37, v79 dst_sel:DWORD dst_unused:UNUSED_PAD src0_sel:DWORD src1_sel:WORD_1
	v_add_f16_e32 v25, v6, v106
	v_fmac_f16_e32 v119, v95, v45
	v_mul_f16_sdwa v49, v80, v26 dst_sel:DWORD dst_unused:UNUSED_PAD src0_sel:DWORD src1_sel:WORD_1
	v_mul_f16_sdwa v64, v82, v28 dst_sel:DWORD dst_unused:UNUSED_PAD src0_sel:DWORD src1_sel:WORD_1
	v_fmac_f16_e32 v15, v21, v76
	v_fmac_f16_e32 v20, v30, v77
	v_mul_f16_sdwa v21, v33, v78 dst_sel:DWORD dst_unused:UNUSED_PAD src0_sel:DWORD src1_sel:WORD_1
	v_mul_f16_sdwa v23, v87, v78 dst_sel:DWORD dst_unused:UNUSED_PAD src0_sel:DWORD src1_sel:WORD_1
	v_fma_f16 v14, -0.5, v14, v6
	v_sub_f16_e32 v39, v103, v108
	v_fma_f16 v30, v29, v79, -v24
	v_add_f16_e32 v24, v25, v46
	v_add_f16_e32 v45, v106, v31
	v_fmac_f16_e32 v49, v97, v26
	v_fmac_f16_e32 v64, v99, v28
	v_fma_f16 v28, v87, v78, -v21
	v_fmac_f16_e32 v23, v33, v78
	v_fmamk_f16 v21, v39, 0x3b9c, v14
	v_sub_f16_e32 v33, v105, v107
	v_sub_f16_e32 v25, v106, v46
	;; [unrolled: 1-line block ×3, first 2 shown]
	v_mul_f16_sdwa v26, v29, v79 dst_sel:DWORD dst_unused:UNUSED_PAD src0_sel:DWORD src1_sel:WORD_1
	v_add_f16_e32 v24, v24, v32
	v_fma_f16 v6, -0.5, v45, v6
	v_fmac_f16_e32 v14, 0xbb9c, v39
	v_fmac_f16_e32 v21, 0x38b4, v33
	v_add_f16_e32 v44, v25, v44
	v_fmac_f16_e32 v26, v37, v79
	v_add_f16_e32 v25, v24, v31
	v_fmamk_f16 v24, v33, 0xbb9c, v6
	v_sub_f16_e32 v29, v46, v106
	v_sub_f16_e32 v37, v32, v31
	v_fmac_f16_e32 v14, 0xb8b4, v33
	v_add_f16_e32 v45, v13, v103
	v_add_f16_e32 v61, v105, v107
	v_fmac_f16_e32 v6, 0x3b9c, v33
	v_fmac_f16_e32 v21, 0x34f2, v44
	;; [unrolled: 1-line block ×3, first 2 shown]
	v_add_f16_e32 v37, v29, v37
	v_add_f16_e32 v33, v45, v105
	v_fma_f16 v29, -0.5, v61, v13
	v_sub_f16_e32 v45, v106, v31
	v_fmac_f16_e32 v14, 0x34f2, v44
	v_fmac_f16_e32 v6, 0xb8b4, v39
	v_add_f16_e32 v39, v103, v108
	v_sub_f16_e32 v44, v46, v32
	v_sub_f16_e32 v32, v103, v105
	;; [unrolled: 1-line block ×3, first 2 shown]
	v_mul_f16_sdwa v35, v81, v73 dst_sel:DWORD dst_unused:UNUSED_PAD src0_sel:DWORD src1_sel:WORD_1
	v_fmac_f16_e32 v24, 0x34f2, v37
	v_fmamk_f16 v31, v45, 0xbb9c, v29
	v_fmac_f16_e32 v6, 0x34f2, v37
	v_fmac_f16_e32 v13, -0.5, v39
	v_add_f16_e32 v39, v32, v46
	v_fmac_f16_e32 v29, 0x3b9c, v45
	v_sub_f16_e32 v37, v105, v103
	v_sub_f16_e32 v46, v107, v108
	v_add_f16_e32 v61, v109, v110
	v_add_f16_e32 v62, v7, v70
	v_mul_f16_sdwa v34, v84, v72 dst_sel:DWORD dst_unused:UNUSED_PAD src0_sel:DWORD src1_sel:WORD_1
	v_fmac_f16_e32 v35, v102, v73
	v_fmac_f16_e32 v31, 0xb8b4, v44
	v_fmamk_f16 v32, v44, 0x3b9c, v13
	v_fmac_f16_e32 v29, 0x38b4, v44
	v_add_f16_e32 v46, v37, v46
	v_fma_f16 v37, -0.5, v61, v7
	v_sub_f16_e32 v61, v101, v67
	v_fmac_f16_e32 v13, 0xbb9c, v44
	v_add_f16_e32 v44, v62, v109
	v_add_f16_e32 v73, v70, v47
	v_fmac_f16_e32 v34, v100, v72
	v_fmac_f16_e32 v31, 0x34f2, v39
	;; [unrolled: 1-line block ×4, first 2 shown]
	v_fmamk_f16 v39, v61, 0x3b9c, v37
	v_sub_f16_e32 v62, v104, v50
	v_sub_f16_e32 v69, v70, v109
	;; [unrolled: 1-line block ×3, first 2 shown]
	v_fmac_f16_e32 v13, 0x38b4, v45
	v_add_f16_e32 v44, v44, v110
	v_fmac_f16_e32 v7, -0.5, v73
	v_fmac_f16_e32 v37, 0xbb9c, v61
	v_add_f16_e32 v73, v11, v101
	v_fmac_f16_e32 v32, 0x34f2, v46
	v_fmac_f16_e32 v39, 0x38b4, v62
	v_add_f16_e32 v69, v69, v72
	v_fmac_f16_e32 v13, 0x34f2, v46
	v_add_f16_e32 v45, v44, v47
	v_fmamk_f16 v44, v62, 0xbb9c, v7
	v_sub_f16_e32 v46, v109, v70
	v_sub_f16_e32 v72, v110, v47
	v_fmac_f16_e32 v37, 0xb8b4, v62
	v_add_f16_e32 v74, v104, v50
	v_fmac_f16_e32 v7, 0x3b9c, v62
	v_add_f16_e32 v62, v73, v104
	;; [unrolled: 2-line block ×3, first 2 shown]
	v_fma_f16 v46, -0.5, v74, v11
	v_sub_f16_e32 v70, v70, v47
	v_fmac_f16_e32 v7, 0xb8b4, v61
	v_add_f16_e32 v61, v62, v50
	v_add_f16_e32 v62, v101, v67
	v_sub_f16_e32 v73, v101, v104
	v_sub_f16_e32 v74, v67, v50
	v_fmac_f16_e32 v39, 0x34f2, v69
	v_fmac_f16_e32 v37, 0x34f2, v69
	;; [unrolled: 1-line block ×3, first 2 shown]
	v_fmamk_f16 v47, v70, 0xbb9c, v46
	v_sub_f16_e32 v69, v109, v110
	v_fmac_f16_e32 v7, 0x34f2, v72
	v_fmac_f16_e32 v11, -0.5, v62
	v_add_f16_e32 v72, v73, v74
	v_fmac_f16_e32 v46, 0x3b9c, v70
	v_add_f16_e32 v74, v4, v112
	v_add_f16_e32 v62, v61, v67
	v_fmac_f16_e32 v47, 0xb8b4, v69
	v_fmamk_f16 v61, v69, 0x3b9c, v11
	v_sub_f16_e32 v73, v104, v101
	v_sub_f16_e32 v50, v50, v67
	v_add_f16_e32 v67, v116, v113
	v_fmac_f16_e32 v46, 0x38b4, v69
	v_fmac_f16_e32 v11, 0xbb9c, v69
	v_add_f16_e32 v69, v74, v116
	v_add_f16_e32 v77, v112, v89
	v_fmac_f16_e32 v47, 0x34f2, v72
	v_fmac_f16_e32 v61, 0xb8b4, v70
	v_add_f16_e32 v73, v73, v50
	v_fma_f16 v50, -0.5, v67, v4
	v_sub_f16_e32 v75, v111, v115
	v_fmac_f16_e32 v46, 0x34f2, v72
	v_sub_f16_e32 v72, v88, v114
	v_sub_f16_e32 v74, v112, v116
	;; [unrolled: 1-line block ×3, first 2 shown]
	v_fmac_f16_e32 v11, 0x38b4, v70
	v_add_f16_e32 v70, v69, v113
	v_fma_f16 v69, -0.5, v77, v4
	v_fmac_f16_e32 v61, 0x34f2, v73
	v_fmamk_f16 v67, v75, 0x3b9c, v50
	v_add_f16_e32 v74, v74, v76
	v_fmac_f16_e32 v11, 0x34f2, v73
	v_fmac_f16_e32 v50, 0xbb9c, v75
	v_fmamk_f16 v4, v72, 0xbb9c, v69
	v_sub_f16_e32 v73, v116, v112
	v_sub_f16_e32 v76, v113, v89
	v_add_f16_e32 v77, v12, v111
	v_add_f16_e32 v78, v88, v114
	v_fmac_f16_e32 v69, 0x3b9c, v72
	v_fmac_f16_e32 v67, 0x38b4, v72
	v_fmac_f16_e32 v50, 0xb8b4, v72
	v_fmac_f16_e32 v4, 0x38b4, v75
	v_add_f16_e32 v76, v73, v76
	v_add_f16_e32 v73, v77, v88
	v_fma_f16 v72, -0.5, v78, v12
	v_sub_f16_e32 v77, v112, v89
	v_fmac_f16_e32 v69, 0xb8b4, v75
	v_add_f16_e32 v75, v111, v115
	v_sub_f16_e32 v79, v111, v88
	v_sub_f16_e32 v80, v115, v114
	v_fmac_f16_e32 v67, 0x34f2, v74
	v_fmac_f16_e32 v50, 0x34f2, v74
	v_add_f16_e32 v74, v73, v114
	v_fmamk_f16 v73, v77, 0xbb9c, v72
	v_sub_f16_e32 v78, v116, v113
	v_fmac_f16_e32 v12, -0.5, v75
	v_add_f16_e32 v75, v79, v80
	v_fmac_f16_e32 v72, 0x3b9c, v77
	v_sub_f16_e32 v79, v88, v111
	v_sub_f16_e32 v80, v114, v115
	v_fmac_f16_e32 v4, 0x34f2, v76
	v_fmac_f16_e32 v69, 0x34f2, v76
	;; [unrolled: 1-line block ×3, first 2 shown]
	v_fmamk_f16 v76, v78, 0x3b9c, v12
	v_add_f16_e32 v81, v92, v93
	v_fmac_f16_e32 v72, 0x38b4, v78
	v_add_f16_e32 v79, v79, v80
	v_add_f16_e32 v80, v5, v91
	v_fmac_f16_e32 v12, 0xbb9c, v78
	v_add_f16_e32 v85, v91, v94
	v_fmac_f16_e32 v73, 0x34f2, v75
	v_fmac_f16_e32 v76, 0xb8b4, v77
	v_fma_f16 v81, -0.5, v81, v5
	v_sub_f16_e32 v82, v90, v119
	v_fmac_f16_e32 v72, 0x34f2, v75
	v_add_f16_e32 v75, v80, v92
	v_sub_f16_e32 v80, v117, v118
	v_sub_f16_e32 v83, v91, v92
	;; [unrolled: 1-line block ×3, first 2 shown]
	v_fmac_f16_e32 v12, 0x38b4, v77
	v_fmac_f16_e32 v5, -0.5, v85
	v_fmac_f16_e32 v76, 0x34f2, v79
	v_fmamk_f16 v78, v82, 0x3b9c, v81
	v_add_f16_e32 v77, v83, v84
	v_fmac_f16_e32 v12, 0x34f2, v79
	v_fmac_f16_e32 v81, 0xbb9c, v82
	v_fmamk_f16 v79, v80, 0xbb9c, v5
	v_sub_f16_e32 v83, v92, v91
	v_sub_f16_e32 v84, v93, v94
	v_add_f16_e32 v85, v9, v90
	v_add_f16_e32 v86, v117, v118
	v_fmac_f16_e32 v5, 0x3b9c, v80
	v_fmac_f16_e32 v78, 0x38b4, v80
	v_fmac_f16_e32 v81, 0xb8b4, v80
	v_fmac_f16_e32 v79, 0x38b4, v82
	v_add_f16_e32 v83, v83, v84
	v_add_f16_e32 v80, v85, v117
	v_fma_f16 v84, -0.5, v86, v9
	v_sub_f16_e32 v85, v91, v94
	v_fmac_f16_e32 v5, 0xb8b4, v82
	v_add_f16_e32 v82, v90, v119
	v_sub_f16_e32 v87, v90, v117
	v_sub_f16_e32 v88, v119, v118
	v_add_f16_e32 v70, v70, v89
	v_fmac_f16_e32 v78, 0x34f2, v77
	v_fmac_f16_e32 v81, 0x34f2, v77
	v_add_f16_e32 v77, v80, v118
	v_fmamk_f16 v80, v85, 0xbb9c, v84
	v_sub_f16_e32 v86, v92, v93
	v_fmac_f16_e32 v9, -0.5, v82
	v_add_f16_e32 v82, v87, v88
	v_fmac_f16_e32 v84, 0x3b9c, v85
	v_sub_f16_e32 v87, v117, v90
	v_sub_f16_e32 v88, v118, v119
	v_add_f16_e32 v89, v65, v66
	v_add_f16_e32 v75, v75, v93
	v_fmac_f16_e32 v79, 0x34f2, v83
	v_fmac_f16_e32 v5, 0x34f2, v83
	v_fmac_f16_e32 v80, 0xb8b4, v86
	v_fmamk_f16 v83, v86, 0x3b9c, v9
	v_fmac_f16_e32 v84, 0x38b4, v86
	v_add_f16_e32 v87, v87, v88
	v_add_f16_e32 v88, v2, v68
	v_fma_f16 v89, -0.5, v89, v2
	v_sub_f16_e32 v90, v48, v64
	v_fmac_f16_e32 v9, 0xbb9c, v86
	v_add_f16_e32 v93, v68, v71
	v_fmac_f16_e32 v80, 0x34f2, v82
	v_fmac_f16_e32 v83, 0xb8b4, v85
	;; [unrolled: 1-line block ×3, first 2 shown]
	v_add_f16_e32 v82, v88, v65
	v_fmamk_f16 v86, v90, 0x3b9c, v89
	v_sub_f16_e32 v88, v49, v63
	v_sub_f16_e32 v91, v68, v65
	;; [unrolled: 1-line block ×3, first 2 shown]
	v_fmac_f16_e32 v9, 0x38b4, v85
	v_fma_f16 v2, -0.5, v93, v2
	v_fmac_f16_e32 v89, 0xbb9c, v90
	v_add_f16_e32 v93, v10, v48
	v_add_f16_e32 v75, v75, v94
	v_fmac_f16_e32 v83, 0x34f2, v87
	v_add_f16_e32 v82, v82, v66
	v_fmac_f16_e32 v86, 0x38b4, v88
	;; [unrolled: 2-line block ×3, first 2 shown]
	v_fmamk_f16 v87, v88, 0xbb9c, v2
	v_sub_f16_e32 v91, v65, v68
	v_sub_f16_e32 v92, v66, v71
	v_fmac_f16_e32 v89, 0xb8b4, v88
	v_add_f16_e32 v94, v49, v63
	v_fmac_f16_e32 v2, 0x3b9c, v88
	v_add_f16_e32 v88, v93, v49
	v_add_f16_e32 v82, v82, v71
	;; [unrolled: 1-line block ×3, first 2 shown]
	v_fma_f16 v92, -0.5, v94, v10
	v_sub_f16_e32 v68, v68, v71
	v_add_f16_e32 v71, v88, v63
	v_add_f16_e32 v88, v48, v64
	v_sub_f16_e32 v65, v65, v66
	v_sub_f16_e32 v66, v48, v49
	v_sub_f16_e32 v48, v49, v48
	v_sub_f16_e32 v49, v63, v64
	v_fmac_f16_e32 v86, 0x34f2, v85
	v_fmac_f16_e32 v87, 0x38b4, v90
	;; [unrolled: 1-line block ×4, first 2 shown]
	v_fmamk_f16 v85, v68, 0xbb9c, v92
	v_sub_f16_e32 v90, v64, v63
	v_fmac_f16_e32 v10, -0.5, v88
	v_fmac_f16_e32 v92, 0x3b9c, v68
	v_add_f16_e32 v63, v40, v41
	v_add_f16_e32 v48, v48, v49
	;; [unrolled: 1-line block ×4, first 2 shown]
	v_fmac_f16_e32 v85, 0xb8b4, v65
	v_add_f16_e32 v66, v66, v90
	v_fmamk_f16 v88, v65, 0x3b9c, v10
	v_fmac_f16_e32 v92, 0x38b4, v65
	v_fma_f16 v63, -0.5, v63, v3
	v_sub_f16_e32 v64, v34, v38
	v_fmac_f16_e32 v10, 0xbb9c, v65
	v_add_f16_e32 v49, v49, v40
	v_add_f16_e32 v93, v42, v43
	v_fmac_f16_e32 v87, 0x34f2, v91
	v_fmac_f16_e32 v2, 0x34f2, v91
	;; [unrolled: 1-line block ×5, first 2 shown]
	v_fmamk_f16 v65, v64, 0x3b9c, v63
	v_sub_f16_e32 v66, v35, v36
	v_sub_f16_e32 v90, v42, v40
	;; [unrolled: 1-line block ×3, first 2 shown]
	v_fmac_f16_e32 v10, 0x38b4, v68
	v_add_f16_e32 v49, v49, v41
	v_fmac_f16_e32 v3, -0.5, v93
	v_fmac_f16_e32 v63, 0xbb9c, v64
	v_add_f16_e32 v93, v8, v34
	v_fmac_f16_e32 v88, 0x34f2, v48
	v_fmac_f16_e32 v65, 0x38b4, v66
	v_add_f16_e32 v68, v90, v91
	v_fmac_f16_e32 v10, 0x34f2, v48
	v_add_f16_e32 v48, v49, v43
	v_fmamk_f16 v49, v66, 0xbb9c, v3
	v_sub_f16_e32 v90, v40, v42
	v_sub_f16_e32 v91, v41, v43
	v_fmac_f16_e32 v63, 0xb8b4, v66
	v_add_f16_e32 v94, v35, v36
	v_fmac_f16_e32 v3, 0x3b9c, v66
	v_add_f16_e32 v66, v93, v35
	v_add_f16_e32 v90, v90, v91
	v_sub_f16_e32 v42, v42, v43
	v_fma_f16 v91, -0.5, v94, v8
	v_fmac_f16_e32 v65, 0x34f2, v68
	v_add_f16_e32 v43, v66, v36
	v_add_f16_e32 v66, v34, v38
	v_fmac_f16_e32 v49, 0x38b4, v64
	v_fmac_f16_e32 v63, 0x34f2, v68
	;; [unrolled: 1-line block ×3, first 2 shown]
	v_fmamk_f16 v64, v42, 0xbb9c, v91
	v_sub_f16_e32 v40, v40, v41
	v_sub_f16_e32 v41, v34, v35
	;; [unrolled: 1-line block ×3, first 2 shown]
	v_fmac_f16_e32 v8, -0.5, v66
	v_fmac_f16_e32 v91, 0x3b9c, v42
	v_sub_f16_e32 v34, v35, v34
	v_sub_f16_e32 v35, v36, v38
	v_add_f16_e32 v36, v22, v28
	v_add_f16_e32 v43, v43, v38
	v_fmac_f16_e32 v64, 0xb8b4, v40
	v_add_f16_e32 v41, v41, v68
	v_fmamk_f16 v66, v40, 0x3b9c, v8
	v_fmac_f16_e32 v91, 0x38b4, v40
	v_add_f16_e32 v34, v34, v35
	v_fmac_f16_e32 v8, 0xbb9c, v40
	v_add_f16_e32 v35, v0, v27
	v_fma_f16 v36, -0.5, v36, v0
	v_sub_f16_e32 v38, v15, v26
	v_fmac_f16_e32 v49, 0x34f2, v90
	v_fmac_f16_e32 v3, 0x34f2, v90
	;; [unrolled: 1-line block ×6, first 2 shown]
	v_add_f16_e32 v35, v35, v22
	v_fmamk_f16 v40, v38, 0x3b9c, v36
	v_sub_f16_e32 v41, v20, v23
	v_sub_f16_e32 v42, v27, v22
	;; [unrolled: 1-line block ×3, first 2 shown]
	v_fmac_f16_e32 v36, 0xbb9c, v38
	v_add_f16_e32 v90, v27, v30
	v_lshrrev_b32_e32 v1, 16, v0
	v_add_f16_e32 v35, v35, v28
	v_fmac_f16_e32 v40, 0x38b4, v41
	v_add_f16_e32 v42, v42, v68
	v_fmac_f16_e32 v36, 0xb8b4, v41
	v_fmac_f16_e32 v0, -0.5, v90
	v_sub_f16_e32 v68, v22, v27
	v_sub_f16_e32 v90, v28, v30
	v_fmac_f16_e32 v66, 0x34f2, v34
	v_fmac_f16_e32 v8, 0x34f2, v34
	v_add_f16_e32 v34, v35, v30
	v_fmac_f16_e32 v40, 0x34f2, v42
	v_fmac_f16_e32 v36, 0x34f2, v42
	v_fmamk_f16 v35, v41, 0xbb9c, v0
	v_add_f16_e32 v42, v20, v23
	v_fmac_f16_e32 v0, 0x3b9c, v41
	v_add_f16_e32 v41, v1, v15
	v_sub_f16_e32 v27, v27, v30
	v_add_f16_e32 v30, v68, v90
	v_add_f16_e32 v68, v15, v26
	v_fma_f16 v42, -0.5, v42, v1
	v_fmac_f16_e32 v35, 0x38b4, v38
	v_fmac_f16_e32 v0, 0xb8b4, v38
	v_add_f16_e32 v38, v41, v20
	v_sub_f16_e32 v22, v22, v28
	v_fmac_f16_e32 v1, -0.5, v68
	v_add_f16_e32 v33, v33, v107
	v_fmamk_f16 v41, v27, 0xbb9c, v42
	v_fmac_f16_e32 v35, 0x34f2, v30
	v_fmac_f16_e32 v0, 0x34f2, v30
	v_add_f16_e32 v28, v38, v23
	v_sub_f16_e32 v30, v15, v20
	v_sub_f16_e32 v38, v26, v23
	v_fmac_f16_e32 v42, 0x3b9c, v27
	v_fmamk_f16 v68, v22, 0x3b9c, v1
	v_sub_f16_e32 v15, v20, v15
	v_sub_f16_e32 v20, v23, v26
	v_fmac_f16_e32 v1, 0xbb9c, v22
	v_add_f16_e32 v33, v33, v108
	v_fmac_f16_e32 v41, 0xb8b4, v22
	v_add_f16_e32 v23, v30, v38
	v_fmac_f16_e32 v42, 0x38b4, v22
	v_fmac_f16_e32 v68, 0xb8b4, v27
	v_add_f16_e32 v15, v15, v20
	v_fmac_f16_e32 v1, 0x38b4, v27
	v_fmac_f16_e32 v41, 0x34f2, v23
	;; [unrolled: 1-line block ×3, first 2 shown]
	v_pack_b32_f16 v22, v45, v62
	v_fmac_f16_e32 v68, 0x34f2, v15
	v_fmac_f16_e32 v1, 0x34f2, v15
	v_pack_b32_f16 v15, v25, v33
	v_pack_b32_f16 v23, v24, v32
	;; [unrolled: 1-line block ×4, first 2 shown]
	v_add_f16_e32 v74, v74, v115
	v_add_f16_e32 v77, v77, v119
	s_barrier
	buffer_gl0_inv
	ds_write2_b32 v51, v15, v22 offset1:56
	v_pack_b32_f16 v22, v39, v47
	ds_write2_b32 v58, v23, v13 offset0:16 offset1:72
	v_pack_b32_f16 v13, v67, v73
	v_pack_b32_f16 v7, v7, v11
	;; [unrolled: 1-line block ×5, first 2 shown]
	ds_write2_b32 v54, v22, v13 offset0:192 offset1:248
	v_pack_b32_f16 v13, v75, v77
	ds_write2_b32 v59, v7, v11 offset0:80 offset1:136
	v_pack_b32_f16 v7, v79, v83
	v_pack_b32_f16 v5, v5, v9
	;; [unrolled: 1-line block ×3, first 2 shown]
	ds_write2_b32 v51, v12, v13 offset0:112 offset1:168
	v_pack_b32_f16 v13, v78, v80
	ds_write2_b32 v58, v4, v7 offset0:128 offset1:184
	v_pack_b32_f16 v4, v86, v85
	v_add_f16_e32 v20, v28, v26
	ds_write2_b32 v53, v5, v2 offset0:64 offset1:120
	v_pack_b32_f16 v2, v49, v66
	v_pack_b32_f16 v7, v82, v71
	ds_write2_b32 v17, v13, v4 offset0:48 offset1:104
	v_pack_b32_f16 v4, v87, v88
	v_pack_b32_f16 v9, v48, v43
	;; [unrolled: 1-line block ×9, first 2 shown]
	ds_write2_b32 v56, v4, v2 offset0:112 offset1:168
	v_pack_b32_f16 v2, v3, v8
	v_pack_b32_f16 v3, v34, v20
	ds_write2_b32 v55, v7, v9 offset0:96 offset1:152
	v_pack_b32_f16 v7, v65, v64
	v_pack_b32_f16 v4, v40, v41
	ds_write2_b32 v60, v5, v10 offset1:56
	v_pack_b32_f16 v5, v35, v68
	v_pack_b32_f16 v0, v0, v1
	;; [unrolled: 1-line block ×3, first 2 shown]
	ds_write2_b32 v57, v14, v15 offset0:32 offset1:88
	ds_write2_b32 v57, v11, v12 offset0:144 offset1:200
	;; [unrolled: 1-line block ×6, first 2 shown]
	ds_write_b32 v51, v1 offset:7616
	s_waitcnt lgkmcnt(0)
	s_barrier
	buffer_gl0_inv
	s_and_saveexec_b32 s0, vcc_lo
	s_cbranch_execz .LBB0_29
; %bb.28:
	v_lshl_add_u32 v20, v16, 2, 0
	v_mov_b32_e32 v17, 0
	v_add_co_u32 v18, vcc_lo, s2, v18
	v_add_co_ci_u32_e32 v19, vcc_lo, s3, v19, vcc_lo
	ds_read2_b32 v[0:1], v20 offset1:56
	v_lshlrev_b64 v[8:9], 2, v[16:17]
	v_add_nc_u32_e32 v2, 56, v16
	v_mov_b32_e32 v3, v17
	v_add_nc_u32_e32 v12, 0x200, v20
	v_add_nc_u32_e32 v4, 0x70, v16
	v_mov_b32_e32 v5, v17
	v_add_co_u32 v8, vcc_lo, v18, v8
	v_add_co_ci_u32_e32 v9, vcc_lo, v19, v9, vcc_lo
	ds_read2_b32 v[10:11], v20 offset0:112 offset1:168
	v_lshlrev_b64 v[2:3], 2, v[2:3]
	v_add_nc_u32_e32 v6, 0xa8, v16
	v_mov_b32_e32 v7, v17
	ds_read2_b32 v[12:13], v12 offset0:96 offset1:152
	v_lshlrev_b64 v[4:5], 2, v[4:5]
	v_add_nc_u32_e32 v14, 0x118, v16
	v_add_co_u32 v2, vcc_lo, v18, v2
	s_waitcnt lgkmcnt(2)
	global_store_dword v[8:9], v0, off
	v_add_nc_u32_e32 v8, 0xe0, v16
	v_mov_b32_e32 v9, v17
	v_lshlrev_b64 v[6:7], 2, v[6:7]
	v_add_co_ci_u32_e32 v3, vcc_lo, v19, v3, vcc_lo
	v_add_co_u32 v4, vcc_lo, v18, v4
	v_lshlrev_b64 v[8:9], 2, v[8:9]
	v_add_co_ci_u32_e32 v5, vcc_lo, v19, v5, vcc_lo
	v_add_co_u32 v6, vcc_lo, v18, v6
	v_add_co_ci_u32_e32 v7, vcc_lo, v19, v7, vcc_lo
	v_add_co_u32 v8, vcc_lo, v18, v8
	v_add_co_ci_u32_e32 v9, vcc_lo, v19, v9, vcc_lo
	v_mov_b32_e32 v15, v17
	global_store_dword v[2:3], v1, off
	s_waitcnt lgkmcnt(1)
	global_store_dword v[4:5], v10, off
	global_store_dword v[6:7], v11, off
	s_waitcnt lgkmcnt(0)
	global_store_dword v[8:9], v12, off
	v_add_nc_u32_e32 v9, 0x400, v20
	v_add_nc_u32_e32 v2, 0x150, v16
	v_mov_b32_e32 v3, v17
	v_lshlrev_b64 v[0:1], 2, v[14:15]
	v_add_nc_u32_e32 v4, 0x188, v16
	ds_read2_b32 v[6:7], v9 offset0:80 offset1:136
	v_mov_b32_e32 v5, v17
	ds_read2_b32 v[10:11], v9 offset0:192 offset1:248
	v_lshlrev_b64 v[2:3], 2, v[2:3]
	v_add_nc_u32_e32 v8, 0x1c0, v16
	v_mov_b32_e32 v9, v17
	v_add_co_u32 v0, vcc_lo, v18, v0
	v_lshlrev_b64 v[4:5], 2, v[4:5]
	v_add_co_ci_u32_e32 v1, vcc_lo, v19, v1, vcc_lo
	v_add_co_u32 v2, vcc_lo, v18, v2
	v_lshlrev_b64 v[8:9], 2, v[8:9]
	v_add_co_ci_u32_e32 v3, vcc_lo, v19, v3, vcc_lo
	v_add_co_u32 v4, vcc_lo, v18, v4
	v_add_co_ci_u32_e32 v5, vcc_lo, v19, v5, vcc_lo
	v_add_co_u32 v8, vcc_lo, v18, v8
	v_add_co_ci_u32_e32 v9, vcc_lo, v19, v9, vcc_lo
	v_add_nc_u32_e32 v14, 0x1f8, v16
	global_store_dword v[0:1], v13, off
	s_waitcnt lgkmcnt(1)
	global_store_dword v[2:3], v6, off
	global_store_dword v[4:5], v7, off
	s_waitcnt lgkmcnt(0)
	global_store_dword v[8:9], v10, off
	v_add_nc_u32_e32 v9, 0x800, v20
	v_add_nc_u32_e32 v2, 0x230, v16
	v_mov_b32_e32 v3, v17
	v_lshlrev_b64 v[0:1], 2, v[14:15]
	v_add_nc_u32_e32 v4, 0x268, v16
	ds_read2_b32 v[6:7], v9 offset0:48 offset1:104
	v_mov_b32_e32 v5, v17
	ds_read2_b32 v[12:13], v9 offset0:160 offset1:216
	v_lshlrev_b64 v[2:3], 2, v[2:3]
	v_add_nc_u32_e32 v8, 0x2a0, v16
	v_mov_b32_e32 v9, v17
	v_add_co_u32 v0, vcc_lo, v18, v0
	v_lshlrev_b64 v[4:5], 2, v[4:5]
	v_add_co_ci_u32_e32 v1, vcc_lo, v19, v1, vcc_lo
	v_add_co_u32 v2, vcc_lo, v18, v2
	v_lshlrev_b64 v[8:9], 2, v[8:9]
	v_add_co_ci_u32_e32 v3, vcc_lo, v19, v3, vcc_lo
	v_add_co_u32 v4, vcc_lo, v18, v4
	v_add_co_ci_u32_e32 v5, vcc_lo, v19, v5, vcc_lo
	v_add_co_u32 v8, vcc_lo, v18, v8
	v_add_co_ci_u32_e32 v9, vcc_lo, v19, v9, vcc_lo
	v_add_nc_u32_e32 v14, 0x2d8, v16
	;; [unrolled: 28-line block ×3, first 2 shown]
	global_store_dword v[0:1], v13, off
	s_waitcnt lgkmcnt(1)
	global_store_dword v[2:3], v6, off
	global_store_dword v[4:5], v7, off
	s_waitcnt lgkmcnt(0)
	global_store_dword v[8:9], v10, off
	v_add_nc_u32_e32 v6, 0xe00, v20
	v_add_nc_u32_e32 v10, 0x1000, v20
	;; [unrolled: 1-line block ×3, first 2 shown]
	v_mov_b32_e32 v3, v17
	v_lshlrev_b64 v[0:1], 2, v[14:15]
	ds_read2_b32 v[6:7], v6 offset0:112 offset1:168
	v_add_nc_u32_e32 v4, 0x428, v16
	v_mov_b32_e32 v5, v17
	ds_read2_b32 v[12:13], v10 offset0:96 offset1:152
	v_lshlrev_b64 v[2:3], 2, v[2:3]
	v_add_nc_u32_e32 v8, 0x460, v16
	v_mov_b32_e32 v9, v17
	v_add_co_u32 v0, vcc_lo, v18, v0
	v_lshlrev_b64 v[4:5], 2, v[4:5]
	v_add_co_ci_u32_e32 v1, vcc_lo, v19, v1, vcc_lo
	v_add_nc_u32_e32 v14, 0x498, v16
	v_add_co_u32 v2, vcc_lo, v18, v2
	v_lshlrev_b64 v[8:9], 2, v[8:9]
	v_add_co_ci_u32_e32 v3, vcc_lo, v19, v3, vcc_lo
	v_add_co_u32 v4, vcc_lo, v18, v4
	v_lshlrev_b64 v[14:15], 2, v[14:15]
	v_add_co_ci_u32_e32 v5, vcc_lo, v19, v5, vcc_lo
	v_add_co_u32 v8, vcc_lo, v18, v8
	v_add_co_ci_u32_e32 v9, vcc_lo, v19, v9, vcc_lo
	global_store_dword v[0:1], v11, off
	s_waitcnt lgkmcnt(1)
	global_store_dword v[2:3], v6, off
	global_store_dword v[4:5], v7, off
	s_waitcnt lgkmcnt(0)
	global_store_dword v[8:9], v12, off
	v_add_co_u32 v0, vcc_lo, v18, v14
	v_add_co_ci_u32_e32 v1, vcc_lo, v19, v15, vcc_lo
	v_add_nc_u32_e32 v6, 0x1200, v20
	v_add_nc_u32_e32 v14, 0x1400, v20
	;; [unrolled: 1-line block ×3, first 2 shown]
	v_mov_b32_e32 v3, v17
	global_store_dword v[0:1], v13, off
	ds_read2_b32 v[0:1], v6 offset0:80 offset1:136
	v_add_nc_u32_e32 v4, 0x508, v16
	v_mov_b32_e32 v5, v17
	ds_read2_b32 v[8:9], v14 offset0:64 offset1:120
	v_lshlrev_b64 v[2:3], 2, v[2:3]
	v_add_nc_u32_e32 v6, 0x540, v16
	v_mov_b32_e32 v7, v17
	v_lshlrev_b64 v[4:5], 2, v[4:5]
	v_add_nc_u32_e32 v10, 0x578, v16
	v_mov_b32_e32 v11, v17
	v_add_co_u32 v2, vcc_lo, v18, v2
	v_lshlrev_b64 v[6:7], 2, v[6:7]
	v_add_co_ci_u32_e32 v3, vcc_lo, v19, v3, vcc_lo
	v_add_co_u32 v4, vcc_lo, v18, v4
	ds_read2_b32 v[14:15], v14 offset0:176 offset1:232
	v_add_co_ci_u32_e32 v5, vcc_lo, v19, v5, vcc_lo
	v_add_co_u32 v6, vcc_lo, v18, v6
	v_add_nc_u32_e32 v12, 0x5b0, v16
	v_mov_b32_e32 v13, v17
	v_add_co_ci_u32_e32 v7, vcc_lo, v19, v7, vcc_lo
	v_lshlrev_b64 v[10:11], 2, v[10:11]
	s_waitcnt lgkmcnt(2)
	global_store_dword v[2:3], v0, off
	global_store_dword v[4:5], v1, off
	s_waitcnt lgkmcnt(1)
	global_store_dword v[6:7], v8, off
	v_lshlrev_b64 v[0:1], 2, v[12:13]
	v_add_nc_u32_e32 v4, 0x5e8, v16
	v_mov_b32_e32 v5, v17
	v_add_nc_u32_e32 v6, 0x620, v16
	v_add_co_u32 v2, vcc_lo, v18, v10
	v_add_co_ci_u32_e32 v3, vcc_lo, v19, v11, vcc_lo
	v_add_co_u32 v0, vcc_lo, v18, v0
	v_add_co_ci_u32_e32 v1, vcc_lo, v19, v1, vcc_lo
	v_add_nc_u32_e32 v10, 0x1800, v20
	v_mov_b32_e32 v7, v17
	global_store_dword v[2:3], v9, off
	s_waitcnt lgkmcnt(0)
	global_store_dword v[0:1], v14, off
	v_lshlrev_b64 v[0:1], 2, v[4:5]
	v_add_nc_u32_e32 v8, 0x690, v16
	ds_read2_b32 v[2:3], v10 offset0:32 offset1:88
	v_lshlrev_b64 v[4:5], 2, v[6:7]
	v_add_nc_u32_e32 v6, 0x658, v16
	v_mov_b32_e32 v9, v17
	v_add_co_u32 v0, vcc_lo, v18, v0
	v_add_co_ci_u32_e32 v1, vcc_lo, v19, v1, vcc_lo
	v_lshlrev_b64 v[6:7], 2, v[6:7]
	v_add_co_u32 v4, vcc_lo, v18, v4
	v_add_co_ci_u32_e32 v5, vcc_lo, v19, v5, vcc_lo
	v_mov_b32_e32 v11, v17
	v_add_co_u32 v6, vcc_lo, v18, v6
	v_add_co_ci_u32_e32 v7, vcc_lo, v19, v7, vcc_lo
	global_store_dword v[0:1], v15, off
	s_waitcnt lgkmcnt(0)
	global_store_dword v[4:5], v2, off
	global_store_dword v[6:7], v3, off
	v_lshlrev_b64 v[2:3], 2, v[8:9]
	v_add_nc_u32_e32 v4, 0x6c8, v16
	v_mov_b32_e32 v5, v17
	v_add_nc_u32_e32 v8, 0x1c00, v20
	ds_read2_b32 v[0:1], v10 offset0:144 offset1:200
	v_add_nc_u32_e32 v6, 0x700, v16
	v_mov_b32_e32 v7, v17
	v_lshlrev_b64 v[4:5], 2, v[4:5]
	ds_read2_b32 v[8:9], v8 offset1:56
	v_add_nc_u32_e32 v10, 0x738, v16
	ds_read_b32 v14, v20 offset:7616
	v_add_co_u32 v2, vcc_lo, v18, v2
	v_lshlrev_b64 v[6:7], 2, v[6:7]
	v_add_nc_u32_e32 v16, 0x770, v16
	v_add_co_ci_u32_e32 v3, vcc_lo, v19, v3, vcc_lo
	v_add_co_u32 v4, vcc_lo, v18, v4
	v_lshlrev_b64 v[10:11], 2, v[10:11]
	v_add_co_ci_u32_e32 v5, vcc_lo, v19, v5, vcc_lo
	v_add_co_u32 v6, vcc_lo, v18, v6
	v_lshlrev_b64 v[12:13], 2, v[16:17]
	v_add_co_ci_u32_e32 v7, vcc_lo, v19, v7, vcc_lo
	v_add_co_u32 v10, vcc_lo, v18, v10
	v_add_co_ci_u32_e32 v11, vcc_lo, v19, v11, vcc_lo
	v_add_co_u32 v12, vcc_lo, v18, v12
	v_add_co_ci_u32_e32 v13, vcc_lo, v19, v13, vcc_lo
	s_waitcnt lgkmcnt(2)
	global_store_dword v[2:3], v0, off
	global_store_dword v[4:5], v1, off
	s_waitcnt lgkmcnt(1)
	global_store_dword v[6:7], v8, off
	global_store_dword v[10:11], v9, off
	s_waitcnt lgkmcnt(0)
	global_store_dword v[12:13], v14, off
.LBB0_29:
	s_endpgm
	.section	.rodata,"a",@progbits
	.p2align	6, 0x0
	.amdhsa_kernel fft_rtc_fwd_len1960_factors_4_7_2_7_5_wgs_56_tpt_56_halfLds_half_ip_CI_unitstride_sbrr_C2R_dirReg
		.amdhsa_group_segment_fixed_size 0
		.amdhsa_private_segment_fixed_size 0
		.amdhsa_kernarg_size 88
		.amdhsa_user_sgpr_count 6
		.amdhsa_user_sgpr_private_segment_buffer 1
		.amdhsa_user_sgpr_dispatch_ptr 0
		.amdhsa_user_sgpr_queue_ptr 0
		.amdhsa_user_sgpr_kernarg_segment_ptr 1
		.amdhsa_user_sgpr_dispatch_id 0
		.amdhsa_user_sgpr_flat_scratch_init 0
		.amdhsa_user_sgpr_private_segment_size 0
		.amdhsa_wavefront_size32 1
		.amdhsa_uses_dynamic_stack 0
		.amdhsa_system_sgpr_private_segment_wavefront_offset 0
		.amdhsa_system_sgpr_workgroup_id_x 1
		.amdhsa_system_sgpr_workgroup_id_y 0
		.amdhsa_system_sgpr_workgroup_id_z 0
		.amdhsa_system_sgpr_workgroup_info 0
		.amdhsa_system_vgpr_workitem_id 0
		.amdhsa_next_free_vgpr 120
		.amdhsa_next_free_sgpr 21
		.amdhsa_reserve_vcc 1
		.amdhsa_reserve_flat_scratch 0
		.amdhsa_float_round_mode_32 0
		.amdhsa_float_round_mode_16_64 0
		.amdhsa_float_denorm_mode_32 3
		.amdhsa_float_denorm_mode_16_64 3
		.amdhsa_dx10_clamp 1
		.amdhsa_ieee_mode 1
		.amdhsa_fp16_overflow 0
		.amdhsa_workgroup_processor_mode 1
		.amdhsa_memory_ordered 1
		.amdhsa_forward_progress 0
		.amdhsa_shared_vgpr_count 0
		.amdhsa_exception_fp_ieee_invalid_op 0
		.amdhsa_exception_fp_denorm_src 0
		.amdhsa_exception_fp_ieee_div_zero 0
		.amdhsa_exception_fp_ieee_overflow 0
		.amdhsa_exception_fp_ieee_underflow 0
		.amdhsa_exception_fp_ieee_inexact 0
		.amdhsa_exception_int_div_zero 0
	.end_amdhsa_kernel
	.text
.Lfunc_end0:
	.size	fft_rtc_fwd_len1960_factors_4_7_2_7_5_wgs_56_tpt_56_halfLds_half_ip_CI_unitstride_sbrr_C2R_dirReg, .Lfunc_end0-fft_rtc_fwd_len1960_factors_4_7_2_7_5_wgs_56_tpt_56_halfLds_half_ip_CI_unitstride_sbrr_C2R_dirReg
                                        ; -- End function
	.section	.AMDGPU.csdata,"",@progbits
; Kernel info:
; codeLenInByte = 23644
; NumSgprs: 23
; NumVgprs: 120
; ScratchSize: 0
; MemoryBound: 0
; FloatMode: 240
; IeeeMode: 1
; LDSByteSize: 0 bytes/workgroup (compile time only)
; SGPRBlocks: 2
; VGPRBlocks: 14
; NumSGPRsForWavesPerEU: 23
; NumVGPRsForWavesPerEU: 120
; Occupancy: 8
; WaveLimiterHint : 1
; COMPUTE_PGM_RSRC2:SCRATCH_EN: 0
; COMPUTE_PGM_RSRC2:USER_SGPR: 6
; COMPUTE_PGM_RSRC2:TRAP_HANDLER: 0
; COMPUTE_PGM_RSRC2:TGID_X_EN: 1
; COMPUTE_PGM_RSRC2:TGID_Y_EN: 0
; COMPUTE_PGM_RSRC2:TGID_Z_EN: 0
; COMPUTE_PGM_RSRC2:TIDIG_COMP_CNT: 0
	.text
	.p2alignl 6, 3214868480
	.fill 48, 4, 3214868480
	.type	__hip_cuid_1799e38cca204201,@object ; @__hip_cuid_1799e38cca204201
	.section	.bss,"aw",@nobits
	.globl	__hip_cuid_1799e38cca204201
__hip_cuid_1799e38cca204201:
	.byte	0                               ; 0x0
	.size	__hip_cuid_1799e38cca204201, 1

	.ident	"AMD clang version 19.0.0git (https://github.com/RadeonOpenCompute/llvm-project roc-6.4.0 25133 c7fe45cf4b819c5991fe208aaa96edf142730f1d)"
	.section	".note.GNU-stack","",@progbits
	.addrsig
	.addrsig_sym __hip_cuid_1799e38cca204201
	.amdgpu_metadata
---
amdhsa.kernels:
  - .args:
      - .actual_access:  read_only
        .address_space:  global
        .offset:         0
        .size:           8
        .value_kind:     global_buffer
      - .offset:         8
        .size:           8
        .value_kind:     by_value
      - .actual_access:  read_only
        .address_space:  global
        .offset:         16
        .size:           8
        .value_kind:     global_buffer
      - .actual_access:  read_only
        .address_space:  global
        .offset:         24
        .size:           8
        .value_kind:     global_buffer
      - .offset:         32
        .size:           8
        .value_kind:     by_value
      - .actual_access:  read_only
        .address_space:  global
        .offset:         40
        .size:           8
        .value_kind:     global_buffer
      - .actual_access:  read_only
        .address_space:  global
        .offset:         48
        .size:           8
        .value_kind:     global_buffer
      - .offset:         56
        .size:           4
        .value_kind:     by_value
      - .actual_access:  read_only
        .address_space:  global
        .offset:         64
        .size:           8
        .value_kind:     global_buffer
      - .actual_access:  read_only
        .address_space:  global
        .offset:         72
        .size:           8
        .value_kind:     global_buffer
      - .address_space:  global
        .offset:         80
        .size:           8
        .value_kind:     global_buffer
    .group_segment_fixed_size: 0
    .kernarg_segment_align: 8
    .kernarg_segment_size: 88
    .language:       OpenCL C
    .language_version:
      - 2
      - 0
    .max_flat_workgroup_size: 56
    .name:           fft_rtc_fwd_len1960_factors_4_7_2_7_5_wgs_56_tpt_56_halfLds_half_ip_CI_unitstride_sbrr_C2R_dirReg
    .private_segment_fixed_size: 0
    .sgpr_count:     23
    .sgpr_spill_count: 0
    .symbol:         fft_rtc_fwd_len1960_factors_4_7_2_7_5_wgs_56_tpt_56_halfLds_half_ip_CI_unitstride_sbrr_C2R_dirReg.kd
    .uniform_work_group_size: 1
    .uses_dynamic_stack: false
    .vgpr_count:     120
    .vgpr_spill_count: 0
    .wavefront_size: 32
    .workgroup_processor_mode: 1
amdhsa.target:   amdgcn-amd-amdhsa--gfx1030
amdhsa.version:
  - 1
  - 2
...

	.end_amdgpu_metadata
